;; amdgpu-corpus repo=ROCm/rccl kind=compiled arch=gfx942 opt=O3
	.text
	.amdgcn_target "amdgcn-amd-amdhsa--gfx942"
	.amdhsa_code_object_version 6
	.p2align	2                               ; -- Begin function _ZN12_GLOBAL__N_17runRingIm8FuncProdImE7ProtoLLLi0ELi1ELi0EEEviiP15ncclDevWorkColl
	.type	_ZN12_GLOBAL__N_17runRingIm8FuncProdImE7ProtoLLLi0ELi1ELi0EEEviiP15ncclDevWorkColl,@function
_ZN12_GLOBAL__N_17runRingIm8FuncProdImE7ProtoLLLi0ELi1ELi0EEEviiP15ncclDevWorkColl: ; @_ZN12_GLOBAL__N_17runRingIm8FuncProdImE7ProtoLLLi0ELi1ELi0EEEviiP15ncclDevWorkColl
; %bb.0:
	s_waitcnt vmcnt(0) expcnt(0) lgkmcnt(0)
	s_or_saveexec_b64 s[0:1], -1
	scratch_store_dword off, v63, s32 offset:76 ; 4-byte Folded Spill
	s_mov_b64 exec, s[0:1]
	scratch_store_dword off, v40, s32 offset:72 ; 4-byte Folded Spill
	scratch_store_dword off, v41, s32 offset:68 ; 4-byte Folded Spill
	;; [unrolled: 1-line block ×18, first 2 shown]
	scratch_store_dword off, a35, s32       ; 4-byte Folded Spill
	v_writelane_b32 v63, s34, 0
	v_writelane_b32 v63, s35, 1
	;; [unrolled: 1-line block ×19, first 2 shown]
	s_nop 1
	v_writelane_b32 v63, s31, 19
	s_trap 2
	flat_load_dword v5, v[2:3]
	flat_load_dwordx4 v[56:59], v[2:3] offset:72
	flat_load_dwordx2 v[8:9], v[2:3] offset:88
	v_mov_b32_e32 v16, v1
	ds_read_b32 v1, v0
	ds_read_b64 v[18:19], v0
                                        ; implicit-def: $vgpr22_vgpr23
                                        ; implicit-def: $vgpr60_vgpr61
	s_waitcnt lgkmcnt(0)
	v_readfirstlane_b32 s16, v1
	s_waitcnt vmcnt(0)
	v_not_b32_sdwa v4, v5 dst_sel:DWORD dst_unused:UNUSED_PAD src0_sel:BYTE_0
	v_add_u32_sdwa v6, v5, v4 dst_sel:DWORD dst_unused:UNUSED_PAD src0_sel:BYTE_1 src1_sel:DWORD
	v_ashrrev_i32_e32 v7, 31, v6
	v_mul_lo_u32 v10, v59, v6
	v_mad_u64_u32 v[24:25], s[0:1], v58, v6, 0
	v_mul_lo_u32 v6, v58, v7
	v_add3_u32 v25, v25, v6, v10
	v_cmp_ne_u32_sdwa s[0:1], v5, v1 src0_sel:BYTE_0 src1_sel:DWORD
	s_and_saveexec_b64 s[2:3], s[0:1]
	s_xor_b64 s[0:1], exec, s[2:3]
	s_cbranch_execz .LBB0_6
; %bb.1:
	v_cmp_ne_u32_sdwa s[2:3], v5, v1 src0_sel:BYTE_1 src1_sel:DWORD
                                        ; implicit-def: $vgpr22_vgpr23
                                        ; implicit-def: $vgpr60_vgpr61
	s_and_saveexec_b64 s[4:5], s[2:3]
	s_xor_b64 s[2:3], exec, s[4:5]
	s_cbranch_execz .LBB0_3
; %bb.2:
	flat_load_dwordx2 v[6:7], v[2:3] offset:96
	v_add_u32_e32 v1, v1, v4
	v_ashrrev_i32_e32 v4, 31, v1
	v_mul_lo_u32 v4, v58, v4
	v_mul_lo_u32 v5, v59, v1
	v_mad_u64_u32 v[60:61], s[4:5], v58, v1, v[56:57]
	v_add3_u32 v61, v5, v61, v4
	s_waitcnt vmcnt(0) lgkmcnt(0)
	v_lshrrev_b64 v[22:23], 20, v[6:7]
.LBB0_3:
	s_andn2_saveexec_b64 s[2:3], s[2:3]
	s_cbranch_execz .LBB0_5
; %bb.4:
	flat_load_dword v1, v[2:3] offset:100
	v_lshl_add_u64 v[60:61], v[24:25], 0, v[56:57]
	v_mov_b64_e32 v[58:59], v[8:9]
	s_waitcnt vmcnt(0) lgkmcnt(0)
	v_lshrrev_b32_e32 v22, 9, v1
.LBB0_5:
	s_or_b64 exec, exec, s[2:3]
.LBB0_6:
	s_andn2_saveexec_b64 s[0:1], s[0:1]
	s_cbranch_execz .LBB0_8
; %bb.7:
	flat_load_dwordx2 v[4:5], v[2:3] offset:96
	v_mov_b64_e32 v[60:61], 0
	v_mov_b64_e32 v[58:59], v[56:57]
	s_waitcnt vmcnt(0) lgkmcnt(0)
	v_lshlrev_b64 v[22:23], 1, v[4:5]
.LBB0_8:
	s_or_b64 exec, exec, s[0:1]
	flat_load_ushort v5, v[2:3] offset:8
	flat_load_dword v4, v[2:3] offset:4
	s_load_dword s0, s[8:9], 0x0
	flat_load_dwordx4 a[6:9], v[2:3] offset:16
	v_mov_b32_e32 v3, 0
	v_ashrrev_i32_e32 v1, 31, v0
	v_lshrrev_b32_e32 v6, 26, v1
	s_waitcnt lgkmcnt(0)
	s_cmp_lt_u32 s12, s0
	s_cselect_b32 s0, 12, 18
	s_add_u32 s0, s8, s0
	s_addc_u32 s1, s9, 0
	global_load_ushort v17, v3, s[0:1]
	s_trap 2
	ds_read_b32 v2, v0
	s_mov_b32 s2, 0
	v_mov_b64_e32 v[20:21], 0
	s_waitcnt lgkmcnt(0)
	v_cmp_gt_i32_e32 vcc, 0, v2
	s_and_b64 vcc, exec, vcc
	s_waitcnt vmcnt(0)
	v_lshrrev_b64 v[4:5], 31, v[4:5]
	v_and_b32_e32 v7, 3, v4
	v_add_u32_e32 v4, v0, v6
	v_and_b32_e32 v4, 0xffffffc0, v4
	v_sub_u32_e32 v6, v0, v4
	v_cmp_eq_u32_e64 s[0:1], 0, v6
	s_cbranch_vccnz .LBB0_10
; %bb.9:
	s_trap 2
	ds_read_b64 v[4:5], v0
	v_lshlrev_b64 v[10:11], 3, v[2:3]
	v_and_b32_e32 v3, 0xffff, v7
	s_movk_i32 s2, 0xa8
	s_waitcnt lgkmcnt(0)
	v_lshl_add_u64 v[4:5], v[4:5], 0, v[10:11]
	flat_load_dwordx2 v[4:5], v[4:5]
	s_waitcnt vmcnt(0) lgkmcnt(0)
	v_mad_u64_u32 v[4:5], s[2:3], v3, s2, v[4:5]
	flat_load_dwordx2 a[14:15], v[4:5] offset:504
	flat_load_dwordx2 v[28:29], v[4:5] offset:608
	s_mov_b64 s[2:3], 0x1f8
	v_lshl_add_u64 v[4:5], v[4:5], 0, s[2:3]
	v_cndmask_b32_e64 v27, 0, v5, s[0:1]
	v_cndmask_b32_e64 v26, 0, v4, s[0:1]
	s_mov_b32 s2, 1
	s_branch .LBB0_11
.LBB0_10:
	v_mov_b64_e32 v[26:27], v[20:21]
                                        ; implicit-def: $vgpr28_vgpr29
                                        ; implicit-def: $agpr14_agpr15
.LBB0_11:
	s_trap 2
	ds_read_b32 v4, v0
	s_waitcnt lgkmcnt(0)
	v_cmp_gt_i32_e32 vcc, 0, v4
	s_cbranch_vccnz .LBB0_13
; %bb.12:
	s_trap 2
	ds_read_b64 v[10:11], v0
	v_mov_b32_e32 v5, 0
	v_lshlrev_b64 v[4:5], 3, v[4:5]
	v_and_b32_e32 v3, 0xffff, v7
	s_movk_i32 s0, 0xa8
	s_waitcnt lgkmcnt(0)
	v_lshl_add_u64 v[4:5], v[10:11], 0, v[4:5]
	flat_load_dwordx2 v[4:5], v[4:5]
	v_cmp_eq_u32_e32 vcc, 0, v6
	s_waitcnt vmcnt(0) lgkmcnt(0)
	v_mad_u64_u32 v[4:5], s[0:1], v3, s0, v[4:5]
	flat_load_dwordx2 v[32:33], v[4:5]
	flat_load_dwordx2 v[10:11], v[4:5] offset:104
	v_cndmask_b32_e32 v21, 0, v5, vcc
	v_cndmask_b32_e32 v20, 0, v4, vcc
	s_branch .LBB0_14
.LBB0_13:
                                        ; implicit-def: $vgpr10_vgpr11
                                        ; implicit-def: $vgpr32_vgpr33
.LBB0_14:
	v_subrev_u32_e32 v3, 64, v16
	v_mov_b64_e32 v[12:13], 0
	v_cmp_le_i32_e32 vcc, v3, v0
	v_cmp_gt_i32_e64 s[0:1], s2, v6
	v_accvgpr_write_b32 a17, v13
	s_and_b64 s[18:19], vcc, s[0:1]
	v_accvgpr_write_b32 a16, v12
                                        ; implicit-def: $vgpr34_vgpr35
	s_and_saveexec_b64 s[0:1], s[18:19]
	s_cbranch_execz .LBB0_16
; %bb.15:
	flat_load_dwordx2 a[16:17], v[26:27] offset:56
	flat_load_dwordx2 v[34:35], v[26:27] offset:104
.LBB0_16:
	s_or_b64 exec, exec, s[0:1]
	v_cmp_gt_i32_e64 s[0:1], s2, v0
	v_mov_b64_e32 v[38:39], v[12:13]
                                        ; implicit-def: $vgpr48_vgpr49
	s_and_saveexec_b64 s[2:3], s[0:1]
	s_cbranch_execz .LBB0_18
; %bb.17:
	flat_load_dwordx2 v[38:39], v[20:21] offset:56
	s_waitcnt vmcnt(0) lgkmcnt(0)
	flat_load_dwordx2 v[48:49], v[38:39] sc0 sc1
	s_waitcnt vmcnt(0)
	flat_load_dwordx4 v[12:15], v[20:21] offset:96
.LBB0_18:
	s_or_b64 exec, exec, s[2:3]
	v_cmp_ne_u64_e32 vcc, 0, v[58:59]
	v_mov_b64_e32 v[50:51], 0
	s_and_saveexec_b64 s[20:21], vcc
	s_cbranch_execz .LBB0_186
; %bb.19:
	v_ashrrev_i32_e32 v3, 31, v2
	v_lshrrev_b32_e32 v3, 29, v3
	v_add_u32_e32 v2, v2, v3
	s_ashr_i32 s17, s16, 31
	v_ashrrev_i32_e32 v62, 7, v2
	v_lshl_add_u64 v[2:3], v[8:9], 0, v[56:57]
	s_lshl_b64 s[2:3], s[16:17], 2
	v_lshl_add_u64 v[40:41], v[2:3], 0, v[24:25]
	v_lshl_add_u64 v[2:3], v[18:19], 0, s[2:3]
	v_lshl_add_u64 v[2:3], v[2:3], 0, -4
	v_accvgpr_write_b32 a19, v3
	v_accvgpr_write_b32 a18, v2
	v_accvgpr_write_b32 a4, v17
	v_cmp_ne_u32_sdwa s[26:27], v17, v16 src0_sel:WORD_0 src1_sel:DWORD
	v_and_b32_e32 v2, 63, v31
	v_ashrrev_i32_e32 v17, 31, v16
	v_cmp_eq_u32_e64 s[8:9], 0, v2
	v_lshrrev_b32_e32 v2, 26, v17
	v_add_u32_e32 v2, v16, v2
	v_ashrrev_i32_e32 v2, 6, v2
	v_ashrrev_i32_e32 v3, 31, v2
	v_accvgpr_write_b32 a21, v3
	v_accvgpr_read_b32 v4, a6
	v_accvgpr_write_b32 a20, v2
	v_lshlrev_b64 v[2:3], 3, v[0:1]
	v_accvgpr_read_b32 v6, a8
	v_accvgpr_read_b32 v7, a9
	v_lshl_add_u64 v[8:9], v[6:7], 0, v[2:3]
	v_accvgpr_write_b32 a23, v9
	v_accvgpr_write_b32 a22, v8
	s_waitcnt vmcnt(0) lgkmcnt(0)
	v_accvgpr_read_b32 v8, a16
	v_accvgpr_read_b32 v5, a7
	;; [unrolled: 1-line block ×3, first 2 shown]
	v_mov_b32_e32 v55, 0
	v_cmp_ne_u64_e64 s[10:11], 0, v[8:9]
	v_lshl_add_u64 v[8:9], v[4:5], 0, v[2:3]
	v_lshl_add_u64 v[2:3], v[60:61], 3, v[2:3]
	v_lshl_add_u64 v[56:57], v[6:7], 0, v[2:3]
	v_lshlrev_b32_e32 v2, 3, v22
	v_mov_b32_e32 v3, v55
	v_and_b32_e32 v2, 0x1fffff0, v2
	v_accvgpr_write_b32 a29, v3
	v_accvgpr_write_b32 a28, v2
	v_lshlrev_b64 v[2:3], 3, v[40:41]
	v_accvgpr_write_b32 a31, v3
	v_and_b32_e32 v54, 7, v4
	v_accvgpr_write_b32 a30, v2
	v_lshl_add_u64 v[2:3], v[0:1], 4, v[32:33]
	v_accvgpr_write_b32 a12, v26
	v_accvgpr_write_b32 a10, v20
	s_mov_b32 s22, 0
	s_cmp_gt_i32 s16, 2
	v_accvgpr_write_b32 a25, v9
	v_cmp_eq_u64_e32 vcc, 0, v[54:55]
	v_accvgpr_write_b32 a33, v3
	v_mov_b64_e32 v[46:47], 0
	v_accvgpr_write_b32 a13, v27
	v_accvgpr_write_b32 a11, v21
	v_and_b32_e32 v20, 0x3ffffe, v22
	s_mov_b32 s23, 1
	v_mov_b32_e32 v21, v55
	s_mov_b64 s[24:25], 0
	v_cmp_ne_u64_e64 s[2:3], 0, v[38:39]
	v_cmp_ne_u64_e64 s[4:5], 0, v[12:13]
	v_cmp_ne_u32_e64 s[6:7], 64, v16
	s_cselect_b64 s[28:29], -1, 0
	v_accvgpr_write_b32 a24, v8
	v_cndmask_b32_e64 v30, 0, 1, vcc
	v_lshlrev_b64 v[24:25], 3, v[16:17]
	v_accvgpr_write_b32 a32, v2
	v_lshlrev_b64 v[22:23], 4, v[16:17]
	s_movk_i32 s17, 0x2710
	s_mov_b64 s[30:31], 0x7ffffff8
	v_mov_b32_e32 v36, 0
	v_mov_b64_e32 v[50:51], v[46:47]
	s_branch .LBB0_21
.LBB0_20:                               ;   in Loop: Header=BB0_21 Depth=1
	s_or_b64 exec, exec, s[12:13]
	v_lshl_add_u64 v[46:47], v[46:47], 0, v[20:21]
	v_accvgpr_read_b32 v2, a28
	v_cmp_ge_u64_e32 vcc, v[46:47], v[58:59]
	v_accvgpr_read_b32 v3, a29
	v_lshl_add_u64 v[28:29], v[28:29], 0, 1
	s_or_b64 s[24:25], vcc, s[24:25]
	v_lshl_add_u64 v[56:57], v[56:57], 0, v[2:3]
	s_andn2_b64 exec, exec, s[24:25]
	s_cbranch_execz .LBB0_185
.LBB0_21:                               ; =>This Loop Header: Depth=1
                                        ;     Child Loop BB0_28 Depth 2
                                        ;     Child Loop BB0_45 Depth 2
	;; [unrolled: 1-line block ×5, first 2 shown]
                                        ;       Child Loop BB0_81 Depth 3
                                        ;       Child Loop BB0_97 Depth 3
	;; [unrolled: 1-line block ×3, first 2 shown]
                                        ;         Child Loop BB0_116 Depth 4
                                        ;       Child Loop BB0_130 Depth 3
                                        ;       Child Loop BB0_74 Depth 3
                                        ;     Child Loop BB0_147 Depth 2
                                        ;       Child Loop BB0_151 Depth 3
                                        ;     Child Loop BB0_172 Depth 2
	v_accvgpr_read_b32 v2, a18
	v_accvgpr_read_b32 v3, a19
	s_waitcnt vmcnt(0) lgkmcnt(0)
	flat_load_dword v7, v[2:3]
	v_sub_co_u32_e32 v2, vcc, v58, v46
	v_accvgpr_write_b32 a5, v30
	s_nop 0
	v_subb_co_u32_e32 v3, vcc, v59, v47, vcc
	v_cmp_lt_u64_e32 vcc, v[20:21], v[2:3]
	s_nop 1
	v_cndmask_b32_e32 v30, v2, v20, vcc
	s_and_saveexec_b64 s[12:13], s[2:3]
	s_cbranch_execz .LBB0_37
; %bb.22:                               ;   in Loop: Header=BB0_21 Depth=1
	v_lshl_add_u64 v[2:3], v[14:15], 0, 1
	v_lshl_add_u64 v[4:5], v[48:49], 0, 8
	v_cmp_lt_u64_e32 vcc, v[4:5], v[2:3]
	s_and_saveexec_b64 s[14:15], vcc
	s_cbranch_execz .LBB0_34
; %bb.23:                               ;   in Loop: Header=BB0_21 Depth=1
	s_sleep 1
	flat_load_dwordx2 v[48:49], v[38:39] sc1
	v_cmp_eq_u32_e32 vcc, 0, v36
	s_and_saveexec_b64 s[34:35], vcc
	s_cbranch_execz .LBB0_33
; %bb.24:                               ;   in Loop: Header=BB0_21 Depth=1
	v_cndmask_b32_e64 v4, 0, 1, vcc
	s_mov_b64 s[36:37], 0
                                        ; implicit-def: $sgpr38_sgpr39
	s_branch .LBB0_28
.LBB0_25:                               ;   in Loop: Header=BB0_28 Depth=2
	s_or_b64 exec, exec, s[46:47]
	s_orn2_b64 s[44:45], s[44:45], exec
.LBB0_26:                               ;   in Loop: Header=BB0_28 Depth=2
	s_or_b64 exec, exec, s[42:43]
	s_xor_b64 vcc, s[44:45], -1
	s_andn2_b64 s[38:39], s[38:39], exec
	s_and_b64 vcc, vcc, exec
	s_or_b64 s[38:39], s[38:39], vcc
.LBB0_27:                               ;   in Loop: Header=BB0_28 Depth=2
	s_or_b64 exec, exec, s[40:41]
	s_and_b64 vcc, exec, s[38:39]
	s_or_b64 s[36:37], vcc, s[36:37]
	s_andn2_b64 exec, exec, s[36:37]
	s_cbranch_execz .LBB0_32
.LBB0_28:                               ;   Parent Loop BB0_21 Depth=1
                                        ; =>  This Inner Loop Header: Depth=2
	s_waitcnt vmcnt(0) lgkmcnt(0)
	v_lshl_add_u64 v[8:9], v[48:49], 0, 8
	v_cmp_lt_u64_e32 vcc, v[8:9], v[2:3]
	v_mov_b32_e32 v36, 0
	s_or_b64 s[38:39], s[38:39], exec
	s_and_saveexec_b64 s[40:41], vcc
	s_cbranch_execz .LBB0_27
; %bb.29:                               ;   in Loop: Header=BB0_28 Depth=2
	s_sleep 1
	flat_load_dwordx2 v[48:49], v[38:39] sc1
	v_add_u32_e32 v4, 1, v4
	v_cmp_eq_u32_e32 vcc, s17, v4
	s_mov_b64 s[44:45], -1
	v_mov_b32_e32 v36, 0
	s_and_saveexec_b64 s[42:43], vcc
	s_cbranch_execz .LBB0_26
; %bb.30:                               ;   in Loop: Header=BB0_28 Depth=2
	s_trap 2
	ds_read_b64 v[4:5], v0
	v_mov_b32_e32 v36, 0
	s_waitcnt vmcnt(0) lgkmcnt(0)
	flat_load_dword v5, v[4:5] sc0 sc1
	s_waitcnt vmcnt(0) lgkmcnt(0)
	buffer_inv sc0 sc1
	v_mov_b32_e32 v4, 0
	v_cmp_ne_u32_e32 vcc, 0, v5
	s_and_saveexec_b64 s[46:47], vcc
	s_cbranch_execz .LBB0_25
; %bb.31:                               ;   in Loop: Header=BB0_28 Depth=2
	v_mov_b32_e32 v36, 1
	s_xor_b64 s[44:45], exec, -1
	ds_write_b32 v0, v5
	s_trap 2
	s_branch .LBB0_25
.LBB0_32:                               ;   in Loop: Header=BB0_21 Depth=1
	s_or_b64 exec, exec, s[36:37]
.LBB0_33:                               ;   in Loop: Header=BB0_21 Depth=1
	s_or_b64 exec, exec, s[34:35]
.LBB0_34:                               ;   in Loop: Header=BB0_21 Depth=1
	s_or_b64 exec, exec, s[14:15]
	s_and_saveexec_b64 s[14:15], s[4:5]
	s_cbranch_execz .LBB0_36
; %bb.35:                               ;   in Loop: Header=BB0_21 Depth=1
	v_and_b32_e32 v54, 0x7ffffff8, v14
	v_cmp_eq_u64_e32 vcc, s[30:31], v[54:55]
	v_and_b32_e32 v6, 7, v14
	s_nop 0
	v_cndmask_b32_e32 v4, v30, v62, vcc
	v_lshlrev_b32_e32 v4, 4, v4
	v_ashrrev_i32_e32 v5, 31, v4
	v_mad_u64_u32 v[8:9], vcc, v6, 24, v[12:13]
	flat_store_dwordx2 v[8:9], v[4:5] offset:8 sc0 sc1
	s_waitcnt vmcnt(0)
.LBB0_36:                               ;   in Loop: Header=BB0_21 Depth=1
	s_or_b64 exec, exec, s[14:15]
	v_mov_b64_e32 v[14:15], v[2:3]
.LBB0_37:                               ;   in Loop: Header=BB0_21 Depth=1
	s_or_b64 exec, exec, s[12:13]
	s_and_saveexec_b64 s[12:13], s[6:7]
	s_cbranch_execz .LBB0_56
; %bb.38:                               ;   in Loop: Header=BB0_21 Depth=1
	s_and_saveexec_b64 s[14:15], s[26:27]
	s_xor_b64 s[14:15], exec, s[14:15]
	s_cbranch_execz .LBB0_53
; %bb.39:                               ;   in Loop: Header=BB0_21 Depth=1
	s_and_saveexec_b64 s[34:35], s[8:9]
	s_cbranch_execz .LBB0_52
; %bb.40:                               ;   in Loop: Header=BB0_21 Depth=1
	s_mov_b64 s[38:39], exec
	v_mbcnt_lo_u32_b32 v2, s38, 0
	v_mbcnt_hi_u32_b32 v2, s39, v2
	v_cmp_eq_u32_e32 vcc, 0, v2
	s_waitcnt lgkmcnt(0)
	s_and_saveexec_b64 s[36:37], vcc
	s_cbranch_execz .LBB0_42
; %bb.41:                               ;   in Loop: Header=BB0_21 Depth=1
	s_bcnt1_i32_b64 vcc_lo, s[38:39]
	v_mov_b32_e32 v54, vcc_lo
	ds_add_u64 v0, v[54:55]
	s_trap 2
.LBB0_42:                               ;   in Loop: Header=BB0_21 Depth=1
	s_or_b64 exec, exec, s[36:37]
	s_trap 2
	ds_read_b64 v[2:3], v0
	v_accvgpr_read_b32 v4, a20
	v_accvgpr_read_b32 v5, a21
	v_lshl_add_u64 v[50:51], v[50:51], 0, v[4:5]
	s_waitcnt lgkmcnt(0)
	v_cmp_lt_u64_e32 vcc, v[2:3], v[50:51]
	s_and_saveexec_b64 s[36:37], vcc
	s_cbranch_execz .LBB0_51
; %bb.43:                               ;   in Loop: Header=BB0_21 Depth=1
	s_mov_b32 s48, 0
	s_mov_b64 s[38:39], 0
                                        ; implicit-def: $sgpr40_sgpr41
                                        ; implicit-def: $sgpr42_sgpr43
	s_branch .LBB0_45
.LBB0_44:                               ;   in Loop: Header=BB0_45 Depth=2
	s_or_b64 exec, exec, s[46:47]
	s_and_b64 vcc, exec, vcc
	s_or_b64 s[38:39], vcc, s[38:39]
	s_andn2_b64 vcc, s[40:41], exec
	s_and_b64 s[40:41], s[42:43], exec
	s_or_b64 s[40:41], vcc, s[40:41]
	s_andn2_b64 exec, exec, s[38:39]
	s_cbranch_execz .LBB0_49
.LBB0_45:                               ;   Parent Loop BB0_21 Depth=1
                                        ; =>  This Inner Loop Header: Depth=2
	s_add_i32 s48, s48, 1
	s_cmpk_lg_i32 s48, 0x2710
	s_cselect_b64 s[44:45], -1, 0
	s_and_b64 vcc, exec, s[44:45]
                                        ; implicit-def: $sgpr46_sgpr47
	s_cbranch_vccnz .LBB0_47
; %bb.46:                               ;   in Loop: Header=BB0_45 Depth=2
	s_trap 2
	ds_read_b64 v[2:3], v0
	s_andn2_b64 s[44:45], s[44:45], exec
	s_mov_b32 s48, 0
	s_mov_b64 s[46:47], -1
	s_waitcnt vmcnt(0) lgkmcnt(0)
	flat_load_dword v2, v[2:3] sc0 sc1
	s_waitcnt vmcnt(0) lgkmcnt(0)
	buffer_inv sc0 sc1
	v_cmp_eq_u32_e32 vcc, 0, v2
	s_and_b64 vcc, vcc, exec
	s_or_b64 s[44:45], s[44:45], vcc
.LBB0_47:                               ;   in Loop: Header=BB0_45 Depth=2
	s_andn2_b64 s[42:43], s[42:43], exec
	s_and_b64 s[46:47], s[46:47], exec
	s_mov_b64 vcc, -1
	s_or_b64 s[42:43], s[42:43], s[46:47]
	s_and_saveexec_b64 s[46:47], s[44:45]
	s_cbranch_execz .LBB0_44
; %bb.48:                               ;   in Loop: Header=BB0_45 Depth=2
	s_sleep 1
	s_trap 2
	ds_read_b64 v[2:3], v0
	s_andn2_b64 s[42:43], s[42:43], exec
	s_waitcnt lgkmcnt(0)
	v_cmp_ge_u64_e32 vcc, v[2:3], v[50:51]
	s_orn2_b64 vcc, vcc, exec
	s_branch .LBB0_44
.LBB0_49:                               ;   in Loop: Header=BB0_21 Depth=1
	s_or_b64 exec, exec, s[38:39]
	s_and_saveexec_b64 vcc, s[40:41]
	s_xor_b64 vcc, exec, vcc
	s_cbranch_execz .LBB0_51
; %bb.50:                               ;   in Loop: Header=BB0_21 Depth=1
	v_mov_b32_e32 v2, 1
	ds_write_b32 v0, v2
	s_trap 2
.LBB0_51:                               ;   in Loop: Header=BB0_21 Depth=1
	s_or_b64 exec, exec, s[36:37]
	;;#ASMSTART
	s_wakeup
	;;#ASMEND
.LBB0_52:                               ;   in Loop: Header=BB0_21 Depth=1
	s_or_b64 exec, exec, s[34:35]
.LBB0_53:                               ;   in Loop: Header=BB0_21 Depth=1
	s_andn2_saveexec_b64 s[14:15], s[14:15]
	s_cbranch_execz .LBB0_55
; %bb.54:                               ;   in Loop: Header=BB0_21 Depth=1
	s_waitcnt lgkmcnt(0)
	s_barrier
.LBB0_55:                               ;   in Loop: Header=BB0_21 Depth=1
	s_or_b64 exec, exec, s[14:15]
.LBB0_56:                               ;   in Loop: Header=BB0_21 Depth=1
	s_or_b64 exec, exec, s[12:13]
	v_accvgpr_write_b32 a6, v20
	v_sub_u32_e32 v26, v30, v0
	v_accvgpr_write_b32 a7, v21
	v_cmp_lt_i32_e64 s[12:13], 0, v26
	v_and_b32_e32 v9, 7, v10
	v_mov_b32_e32 v6, v0
	s_and_saveexec_b64 s[14:15], s[12:13]
	s_cbranch_execz .LBB0_60
; %bb.57:                               ;   in Loop: Header=BB0_21 Depth=1
	v_accvgpr_read_b32 v53, a31
	s_waitcnt vmcnt(0) lgkmcnt(0)
	v_ashrrev_i32_e32 v6, 31, v7
	v_accvgpr_read_b32 v52, a30
	v_mad_u64_u32 v[4:5], vcc, v52, v7, v[56:57]
	v_mul_lo_u32 v7, v53, v7
	v_mul_lo_u32 v6, v52, v6
	v_mul_lo_u32 v20, v9, v62
	v_add3_u32 v5, v7, v5, v6
	v_accvgpr_read_b32 v6, a32
	v_ashrrev_i32_e32 v21, 31, v20
	v_mov_b32_e32 v2, v55
	v_mov_b32_e32 v3, v10
	v_accvgpr_read_b32 v7, a33
	v_lshl_add_u64 v[2:3], v[2:3], 0, s[22:23]
	v_lshl_add_u64 v[20:21], v[20:21], 4, v[6:7]
	s_mov_b64 s[34:35], 0
	v_mov_b32_e32 v7, v26
	v_mov_b32_e32 v6, v0
.LBB0_58:                               ;   Parent Loop BB0_21 Depth=1
                                        ; =>  This Inner Loop Header: Depth=2
	global_load_dwordx2 v[52:53], v[4:5], off nt
	v_sub_u32_e32 v7, v7, v16
	v_mov_b32_e32 v43, v3
	v_mov_b32_e32 v45, v3
	v_cmp_gt_i32_e32 vcc, 1, v7
	v_add_u32_e32 v6, v6, v16
	v_lshl_add_u64 v[4:5], v[4:5], 0, v[24:25]
	s_or_b64 s[34:35], vcc, s[34:35]
	s_waitcnt vmcnt(0)
	v_mov_b32_e32 v8, v53
	v_or_b32_e32 v42, v52, v2
	v_or_b32_e32 v44, v8, v2
	global_store_dwordx4 v[20:21], v[42:45], off
	v_lshl_add_u64 v[20:21], v[20:21], 0, v[22:23]
	s_andn2_b64 exec, exec, s[34:35]
	s_cbranch_execnz .LBB0_58
; %bb.59:                               ;   in Loop: Header=BB0_21 Depth=1
	s_or_b64 exec, exec, s[34:35]
.LBB0_60:                               ;   in Loop: Header=BB0_21 Depth=1
	s_or_b64 exec, exec, s[14:15]
	v_and_b32_e32 v54, 0x7ffffff8, v10
	v_cmp_eq_u64_e32 vcc, s[30:31], v[54:55]
	v_cmp_gt_i32_e64 s[14:15], v62, v6
	s_and_b64 vcc, vcc, s[14:15]
	s_and_saveexec_b64 s[14:15], vcc
	s_cbranch_execz .LBB0_63
; %bb.61:                               ;   in Loop: Header=BB0_21 Depth=1
	v_mul_lo_u32 v4, v9, v62
	v_ashrrev_i32_e32 v5, 31, v4
	s_waitcnt vmcnt(0) lgkmcnt(0)
	v_ashrrev_i32_e32 v7, 31, v6
	v_lshlrev_b64 v[4:5], 4, v[4:5]
	v_mov_b32_e32 v2, v55
	v_mov_b32_e32 v3, v10
	v_lshl_add_u64 v[4:5], v[6:7], 4, v[4:5]
	v_lshl_add_u64 v[2:3], v[2:3], 0, s[22:23]
	;; [unrolled: 1-line block ×3, first 2 shown]
	s_mov_b64 s[34:35], 0
.LBB0_62:                               ;   Parent Loop BB0_21 Depth=1
                                        ; =>  This Inner Loop Header: Depth=2
	v_add_u32_e32 v6, v6, v16
	v_mov_b32_e32 v4, v2
	v_mov_b32_e32 v5, v3
	v_cmp_ge_i32_e32 vcc, v6, v62
	global_store_dwordx4 v[20:21], v[2:5], off
	s_or_b64 s[34:35], vcc, s[34:35]
	v_lshl_add_u64 v[20:21], v[20:21], 0, v[22:23]
	s_andn2_b64 exec, exec, s[34:35]
	s_cbranch_execnz .LBB0_62
.LBB0_63:                               ;   in Loop: Header=BB0_21 Depth=1
	s_or_b64 exec, exec, s[14:15]
	v_accvgpr_write_b32 a26, v56
	v_accvgpr_write_b32 a27, v57
	v_lshl_add_u64 v[4:5], v[46:47], 0, v[60:61]
	s_andn2_b64 vcc, exec, s[28:29]
	v_lshl_add_u64 v[56:57], v[10:11], 0, 1
	s_cbranch_vccnz .LBB0_141
; %bb.64:                               ;   in Loop: Header=BB0_21 Depth=1
	v_accvgpr_read_b32 v2, a22
	v_accvgpr_write_b32 a0, v60
	v_accvgpr_write_b32 a2, v58
	v_accvgpr_read_b32 v3, a23
	v_accvgpr_write_b32 a35, v5
	v_accvgpr_write_b32 a1, v61
	;; [unrolled: 1-line block ×4, first 2 shown]
	v_lshl_add_u64 v[60:61], v[4:5], 3, v[2:3]
	v_add_u16_e32 v27, 1, v10
	s_mov_b32 s50, 2
	s_branch .LBB0_66
.LBB0_65:                               ;   in Loop: Header=BB0_66 Depth=2
	s_or_b64 exec, exec, s[14:15]
	s_add_i32 s50, s50, 1
	v_lshl_add_u64 v[28:29], v[28:29], 0, 1
	v_lshl_add_u64 v[56:57], v[56:57], 0, 1
	s_cmp_eq_u32 s50, s16
	v_add_u16_e32 v27, 1, v27
	s_cbranch_scc1 .LBB0_142
.LBB0_66:                               ;   Parent Loop BB0_21 Depth=1
                                        ; =>  This Loop Header: Depth=2
                                        ;       Child Loop BB0_81 Depth 3
                                        ;       Child Loop BB0_97 Depth 3
	;; [unrolled: 1-line block ×3, first 2 shown]
                                        ;         Child Loop BB0_116 Depth 4
                                        ;       Child Loop BB0_130 Depth 3
                                        ;       Child Loop BB0_74 Depth 3
	s_sub_i32 s14, s16, s50
	s_ashr_i32 s15, s14, 31
	s_lshl_b64 s[14:15], s[14:15], 2
	v_lshl_add_u64 v[2:3], v[18:19], 0, s[14:15]
	s_waitcnt vmcnt(0) lgkmcnt(0)
	flat_load_dword v4, v[2:3]
	s_and_saveexec_b64 s[14:15], s[2:3]
	s_cbranch_execnz .LBB0_75
; %bb.67:                               ;   in Loop: Header=BB0_66 Depth=2
	s_or_b64 exec, exec, s[14:15]
	s_and_saveexec_b64 s[14:15], s[6:7]
	s_cbranch_execnz .LBB0_90
.LBB0_68:                               ;   in Loop: Header=BB0_66 Depth=2
	s_or_b64 exec, exec, s[14:15]
	v_mov_b32_e32 v10, v0
	s_and_saveexec_b64 s[34:35], s[12:13]
	s_cbranch_execnz .LBB0_108
.LBB0_69:                               ;   in Loop: Header=BB0_66 Depth=2
	s_or_b64 exec, exec, s[34:35]
	s_and_saveexec_b64 s[14:15], s[6:7]
	s_cbranch_execnz .LBB0_123
.LBB0_70:                               ;   in Loop: Header=BB0_66 Depth=2
	s_or_b64 exec, exec, s[14:15]
	s_and_saveexec_b64 s[14:15], s[10:11]
	s_cbranch_execz .LBB0_72
.LBB0_71:                               ;   in Loop: Header=BB0_66 Depth=2
	v_accvgpr_read_b32 v2, a16
	v_lshl_add_u64 v[34:35], v[34:35], 0, 1
	v_accvgpr_read_b32 v3, a17
	flat_store_dwordx2 v[2:3], v[34:35] sc0 sc1
.LBB0_72:                               ;   in Loop: Header=BB0_66 Depth=2
	s_or_b64 exec, exec, s[14:15]
	v_and_b32_e32 v54, 0x7ffffff8, v56
	v_cmp_eq_u64_e32 vcc, s[30:31], v[54:55]
	v_cmp_gt_i32_e64 s[14:15], v62, v10
	s_and_b64 vcc, vcc, s[14:15]
	s_and_saveexec_b64 s[14:15], vcc
	s_cbranch_execz .LBB0_65
; %bb.73:                               ;   in Loop: Header=BB0_66 Depth=2
	v_and_b32_e32 v2, 7, v27
	v_mul_lo_u32 v2, v62, v2
	v_ashrrev_i32_e32 v3, 31, v2
	s_waitcnt vmcnt(0) lgkmcnt(0)
	v_lshlrev_b64 v[4:5], 4, v[2:3]
	v_ashrrev_i32_e32 v11, 31, v10
	v_mov_b32_e32 v2, v55
	v_mov_b32_e32 v3, v56
	v_lshl_add_u64 v[4:5], v[10:11], 4, v[4:5]
	v_lshl_add_u64 v[2:3], v[2:3], 0, s[22:23]
	v_lshl_add_u64 v[6:7], v[32:33], 0, v[4:5]
	s_mov_b64 s[34:35], 0
.LBB0_74:                               ;   Parent Loop BB0_21 Depth=1
                                        ;     Parent Loop BB0_66 Depth=2
                                        ; =>    This Inner Loop Header: Depth=3
	v_add_u32_e32 v10, v10, v16
	v_mov_b32_e32 v4, v2
	v_mov_b32_e32 v5, v3
	v_cmp_ge_i32_e32 vcc, v10, v62
	global_store_dwordx4 v[6:7], v[2:5], off
	s_or_b64 s[34:35], vcc, s[34:35]
	v_lshl_add_u64 v[6:7], v[6:7], 0, v[22:23]
	s_andn2_b64 exec, exec, s[34:35]
	s_cbranch_execnz .LBB0_74
	s_branch .LBB0_65
.LBB0_75:                               ;   in Loop: Header=BB0_66 Depth=2
	v_lshl_add_u64 v[2:3], v[14:15], 0, 1
	s_waitcnt vmcnt(0) lgkmcnt(0)
	v_lshl_add_u64 v[6:7], v[48:49], 0, 8
	v_cmp_lt_u64_e32 vcc, v[6:7], v[2:3]
	s_and_saveexec_b64 s[34:35], vcc
	s_cbranch_execz .LBB0_87
; %bb.76:                               ;   in Loop: Header=BB0_66 Depth=2
	s_sleep 1
	flat_load_dwordx2 v[48:49], v[38:39] sc1
	v_cmp_eq_u32_e32 vcc, 0, v36
	s_and_saveexec_b64 s[36:37], vcc
	s_cbranch_execz .LBB0_86
; %bb.77:                               ;   in Loop: Header=BB0_66 Depth=2
	v_cndmask_b32_e64 v5, 0, 1, vcc
	s_mov_b64 s[38:39], 0
                                        ; implicit-def: $sgpr40_sgpr41
	s_branch .LBB0_81
.LBB0_78:                               ;   in Loop: Header=BB0_81 Depth=3
	s_or_b64 exec, exec, s[48:49]
	s_orn2_b64 s[46:47], s[46:47], exec
.LBB0_79:                               ;   in Loop: Header=BB0_81 Depth=3
	s_or_b64 exec, exec, s[44:45]
	s_xor_b64 vcc, s[46:47], -1
	s_andn2_b64 s[40:41], s[40:41], exec
	s_and_b64 vcc, vcc, exec
	s_or_b64 s[40:41], s[40:41], vcc
.LBB0_80:                               ;   in Loop: Header=BB0_81 Depth=3
	s_or_b64 exec, exec, s[42:43]
	s_and_b64 vcc, exec, s[40:41]
	s_or_b64 s[38:39], vcc, s[38:39]
	s_andn2_b64 exec, exec, s[38:39]
	s_cbranch_execz .LBB0_85
.LBB0_81:                               ;   Parent Loop BB0_21 Depth=1
                                        ;     Parent Loop BB0_66 Depth=2
                                        ; =>    This Inner Loop Header: Depth=3
	s_waitcnt vmcnt(0) lgkmcnt(0)
	v_lshl_add_u64 v[6:7], v[48:49], 0, 8
	v_cmp_lt_u64_e32 vcc, v[6:7], v[2:3]
	v_mov_b32_e32 v36, 0
	s_or_b64 s[40:41], s[40:41], exec
	s_and_saveexec_b64 s[42:43], vcc
	s_cbranch_execz .LBB0_80
; %bb.82:                               ;   in Loop: Header=BB0_81 Depth=3
	s_sleep 1
	flat_load_dwordx2 v[48:49], v[38:39] sc1
	v_add_u32_e32 v5, 1, v5
	v_cmp_eq_u32_e32 vcc, s17, v5
	s_mov_b64 s[46:47], -1
	v_mov_b32_e32 v36, 0
	s_and_saveexec_b64 s[44:45], vcc
	s_cbranch_execz .LBB0_79
; %bb.83:                               ;   in Loop: Header=BB0_81 Depth=3
	s_trap 2
	ds_read_b64 v[6:7], v0
	v_mov_b32_e32 v5, 0
	v_mov_b32_e32 v36, 0
	s_waitcnt vmcnt(0) lgkmcnt(0)
	flat_load_dword v6, v[6:7] sc0 sc1
	s_waitcnt vmcnt(0) lgkmcnt(0)
	buffer_inv sc0 sc1
	v_cmp_ne_u32_e32 vcc, 0, v6
	s_and_saveexec_b64 s[48:49], vcc
	s_cbranch_execz .LBB0_78
; %bb.84:                               ;   in Loop: Header=BB0_81 Depth=3
	v_mov_b32_e32 v36, 1
	s_xor_b64 s[46:47], exec, -1
	ds_write_b32 v0, v6
	s_trap 2
	s_branch .LBB0_78
.LBB0_85:                               ;   in Loop: Header=BB0_66 Depth=2
	s_or_b64 exec, exec, s[38:39]
.LBB0_86:                               ;   in Loop: Header=BB0_66 Depth=2
	s_or_b64 exec, exec, s[36:37]
.LBB0_87:                               ;   in Loop: Header=BB0_66 Depth=2
	s_or_b64 exec, exec, s[34:35]
	s_and_saveexec_b64 s[34:35], s[4:5]
	s_cbranch_execz .LBB0_89
; %bb.88:                               ;   in Loop: Header=BB0_66 Depth=2
	v_and_b32_e32 v54, 0x7ffffff8, v14
	v_cmp_eq_u64_e32 vcc, s[30:31], v[54:55]
	s_nop 1
	v_cndmask_b32_e32 v5, v30, v62, vcc
	v_lshlrev_b32_e32 v6, 4, v5
	v_and_b32_e32 v5, 7, v14
	v_ashrrev_i32_e32 v7, 31, v6
	v_mad_u64_u32 v[8:9], vcc, v5, 24, v[12:13]
	flat_store_dwordx2 v[8:9], v[6:7] offset:8 sc0 sc1
	s_waitcnt vmcnt(0)
.LBB0_89:                               ;   in Loop: Header=BB0_66 Depth=2
	s_or_b64 exec, exec, s[34:35]
	v_mov_b64_e32 v[14:15], v[2:3]
	s_or_b64 exec, exec, s[14:15]
	s_and_saveexec_b64 s[14:15], s[6:7]
	s_cbranch_execz .LBB0_68
.LBB0_90:                               ;   in Loop: Header=BB0_66 Depth=2
	s_and_saveexec_b64 vcc, s[26:27]
	s_xor_b64 s[34:35], exec, vcc
	s_cbranch_execz .LBB0_105
; %bb.91:                               ;   in Loop: Header=BB0_66 Depth=2
	s_and_saveexec_b64 s[36:37], s[8:9]
	s_cbranch_execz .LBB0_104
; %bb.92:                               ;   in Loop: Header=BB0_66 Depth=2
	s_mov_b64 s[40:41], exec
	v_mbcnt_lo_u32_b32 v2, s40, 0
	v_mbcnt_hi_u32_b32 v2, s41, v2
	v_cmp_eq_u32_e32 vcc, 0, v2
	s_waitcnt lgkmcnt(0)
	s_and_saveexec_b64 s[38:39], vcc
	s_cbranch_execz .LBB0_94
; %bb.93:                               ;   in Loop: Header=BB0_66 Depth=2
	s_bcnt1_i32_b64 vcc_lo, s[40:41]
	v_mov_b32_e32 v54, vcc_lo
	ds_add_u64 v0, v[54:55]
	s_trap 2
.LBB0_94:                               ;   in Loop: Header=BB0_66 Depth=2
	s_or_b64 exec, exec, s[38:39]
	s_trap 2
	ds_read_b64 v[2:3], v0
	s_waitcnt vmcnt(0)
	v_accvgpr_read_b32 v6, a20
	v_accvgpr_read_b32 v7, a21
	v_lshl_add_u64 v[50:51], v[50:51], 0, v[6:7]
	s_waitcnt lgkmcnt(0)
	v_cmp_lt_u64_e32 vcc, v[2:3], v[50:51]
	s_and_saveexec_b64 s[38:39], vcc
	s_cbranch_execz .LBB0_103
; %bb.95:                               ;   in Loop: Header=BB0_66 Depth=2
	s_mov_b32 s51, 0
	s_mov_b64 s[40:41], 0
                                        ; implicit-def: $sgpr42_sgpr43
                                        ; implicit-def: $sgpr44_sgpr45
	s_branch .LBB0_97
.LBB0_96:                               ;   in Loop: Header=BB0_97 Depth=3
	s_or_b64 exec, exec, s[48:49]
	s_and_b64 vcc, exec, vcc
	s_or_b64 s[40:41], vcc, s[40:41]
	s_andn2_b64 vcc, s[42:43], exec
	s_and_b64 s[42:43], s[44:45], exec
	s_or_b64 s[42:43], vcc, s[42:43]
	s_andn2_b64 exec, exec, s[40:41]
	s_cbranch_execz .LBB0_101
.LBB0_97:                               ;   Parent Loop BB0_21 Depth=1
                                        ;     Parent Loop BB0_66 Depth=2
                                        ; =>    This Inner Loop Header: Depth=3
	s_add_i32 s51, s51, 1
	s_cmpk_lg_i32 s51, 0x2710
	s_cselect_b64 s[46:47], -1, 0
	s_and_b64 vcc, exec, s[46:47]
                                        ; implicit-def: $sgpr48_sgpr49
	s_cbranch_vccnz .LBB0_99
; %bb.98:                               ;   in Loop: Header=BB0_97 Depth=3
	s_trap 2
	ds_read_b64 v[2:3], v0
	s_andn2_b64 s[46:47], s[46:47], exec
	s_mov_b32 s51, 0
	s_mov_b64 s[48:49], -1
	s_waitcnt lgkmcnt(0)
	flat_load_dword v2, v[2:3] sc0 sc1
	s_waitcnt vmcnt(0) lgkmcnt(0)
	buffer_inv sc0 sc1
	v_cmp_eq_u32_e32 vcc, 0, v2
	s_and_b64 vcc, vcc, exec
	s_or_b64 s[46:47], s[46:47], vcc
.LBB0_99:                               ;   in Loop: Header=BB0_97 Depth=3
	s_andn2_b64 s[44:45], s[44:45], exec
	s_and_b64 s[48:49], s[48:49], exec
	s_mov_b64 vcc, -1
	s_or_b64 s[44:45], s[44:45], s[48:49]
	s_and_saveexec_b64 s[48:49], s[46:47]
	s_cbranch_execz .LBB0_96
; %bb.100:                              ;   in Loop: Header=BB0_97 Depth=3
	s_sleep 1
	s_trap 2
	ds_read_b64 v[2:3], v0
	s_andn2_b64 s[44:45], s[44:45], exec
	s_waitcnt lgkmcnt(0)
	v_cmp_ge_u64_e32 vcc, v[2:3], v[50:51]
	s_orn2_b64 vcc, vcc, exec
	s_branch .LBB0_96
.LBB0_101:                              ;   in Loop: Header=BB0_66 Depth=2
	s_or_b64 exec, exec, s[40:41]
	s_and_saveexec_b64 vcc, s[42:43]
	s_xor_b64 vcc, exec, vcc
	s_cbranch_execz .LBB0_103
; %bb.102:                              ;   in Loop: Header=BB0_66 Depth=2
	v_mov_b32_e32 v2, 1
	ds_write_b32 v0, v2
	s_trap 2
.LBB0_103:                              ;   in Loop: Header=BB0_66 Depth=2
	s_or_b64 exec, exec, s[38:39]
	;;#ASMSTART
	s_wakeup
	;;#ASMEND
.LBB0_104:                              ;   in Loop: Header=BB0_66 Depth=2
	s_or_b64 exec, exec, s[36:37]
.LBB0_105:                              ;   in Loop: Header=BB0_66 Depth=2
	s_andn2_saveexec_b64 vcc, s[34:35]
	s_cbranch_execz .LBB0_107
; %bb.106:                              ;   in Loop: Header=BB0_66 Depth=2
	s_waitcnt lgkmcnt(0)
	s_barrier
.LBB0_107:                              ;   in Loop: Header=BB0_66 Depth=2
	s_or_b64 exec, exec, vcc
	s_or_b64 exec, exec, s[14:15]
	v_mov_b32_e32 v10, v0
	s_and_saveexec_b64 s[34:35], s[12:13]
	s_cbranch_execz .LBB0_69
.LBB0_108:                              ;   in Loop: Header=BB0_66 Depth=2
	s_waitcnt vmcnt(0) lgkmcnt(0)
	v_ashrrev_i32_e32 v2, 31, v4
	v_mul_lo_u32 v5, v41, v4
	v_mul_lo_u32 v6, v40, v2
	v_mad_u64_u32 v[2:3], s[14:15], v40, v4, 0
	v_add3_u32 v3, v3, v6, v5
	v_lshl_add_u64 v[20:21], v[2:3], 3, v[60:61]
	v_and_b32_e32 v2, 7, v28
	v_mul_lo_u32 v2, v2, v62
	v_accvgpr_read_b32 v4, a14
	v_ashrrev_i32_e32 v3, 31, v2
	v_accvgpr_read_b32 v5, a15
	v_lshl_add_u64 v[42:43], v[2:3], 4, v[4:5]
	v_and_b32_e32 v2, 7, v56
	v_mul_lo_u32 v2, v2, v62
	v_ashrrev_i32_e32 v3, 31, v2
	v_lshl_add_u64 v[58:59], v[2:3], 4, v[32:33]
	v_mov_b32_e32 v2, v55
	v_mov_b32_e32 v3, v56
	v_add_u32_e32 v37, 1, v28
	v_lshl_add_u64 v[44:45], v[2:3], 0, s[22:23]
	s_mov_b64 s[36:37], 0
	v_mov_b32_e32 v9, v36
	v_mov_b32_e32 v54, v26
	;; [unrolled: 1-line block ×3, first 2 shown]
	s_branch .LBB0_112
.LBB0_109:                              ;   in Loop: Header=BB0_112 Depth=3
	s_or_b64 exec, exec, s[42:43]
.LBB0_110:                              ;   in Loop: Header=BB0_112 Depth=3
	s_or_b64 exec, exec, s[40:41]
.LBB0_111:                              ;   in Loop: Header=BB0_112 Depth=3
	s_or_b64 exec, exec, s[38:39]
	s_waitcnt vmcnt(0)
	v_mul_lo_u32 v4, v4, v6
	v_mul_lo_u32 v5, v2, v7
	v_mad_u64_u32 v[2:3], s[14:15], v2, v6, 0
	v_sub_u32_e32 v54, v54, v16
	v_add3_u32 v3, v3, v5, v4
	v_cmp_gt_i32_e32 vcc, 1, v54
	v_lshl_add_u64 v[20:21], v[16:17], 3, v[20:21]
	v_lshl_add_u64 v[6:7], v[10:11], 4, v[58:59]
	v_or_b32_e32 v2, v44, v2
	v_or_b32_e32 v4, v44, v3
	v_mov_b32_e32 v3, v45
	v_mov_b32_e32 v5, v45
	s_or_b64 s[36:37], vcc, s[36:37]
	v_add_u32_e32 v10, v10, v16
	global_store_dwordx4 v[6:7], v[2:5], off
	s_andn2_b64 exec, exec, s[36:37]
	s_cbranch_execz .LBB0_122
.LBB0_112:                              ;   Parent Loop BB0_21 Depth=1
                                        ;     Parent Loop BB0_66 Depth=2
                                        ; =>    This Loop Header: Depth=3
                                        ;         Child Loop BB0_116 Depth 4
	v_ashrrev_i32_e32 v11, 31, v10
	v_lshl_add_u64 v[52:53], v[10:11], 4, v[42:43]
	global_load_dwordx2 v[6:7], v[20:21], off nt
	global_load_dwordx4 v[2:5], v[52:53], off nt
	v_cmp_eq_u32_e32 vcc, 0, v9
	s_and_saveexec_b64 s[38:39], vcc
	s_cbranch_execz .LBB0_111
; %bb.113:                              ;   in Loop: Header=BB0_112 Depth=3
	s_waitcnt vmcnt(0)
	v_cmp_ne_u32_e32 vcc, v37, v3
	v_cmp_ne_u32_e64 s[14:15], v37, v5
	s_or_b64 s[14:15], vcc, s[14:15]
	v_mov_b32_e32 v9, 0
	s_and_saveexec_b64 s[40:41], s[14:15]
	s_cbranch_execz .LBB0_110
; %bb.114:                              ;   in Loop: Header=BB0_112 Depth=3
	s_mov_b32 s46, 1
	s_mov_b64 s[42:43], 0
	v_mov_b32_e32 v9, 0
	s_branch .LBB0_116
.LBB0_115:                              ;   in Loop: Header=BB0_116 Depth=4
	s_or_b64 exec, exec, s[44:45]
	s_and_b64 s[14:15], exec, s[14:15]
	s_or_b64 s[42:43], s[14:15], s[42:43]
	s_andn2_b64 exec, exec, s[42:43]
	s_cbranch_execz .LBB0_109
.LBB0_116:                              ;   Parent Loop BB0_21 Depth=1
                                        ;     Parent Loop BB0_66 Depth=2
                                        ;       Parent Loop BB0_112 Depth=3
                                        ; =>      This Inner Loop Header: Depth=4
	global_load_dwordx4 v[2:5], v[52:53], off nt
	s_add_i32 s46, s46, 1
	s_cmpk_lg_i32 s46, 0x2710
	s_cbranch_scc1 .LBB0_120
; %bb.117:                              ;   in Loop: Header=BB0_116 Depth=4
	s_trap 2
	ds_read_b64 v[8:9], v0
	s_waitcnt vmcnt(0) lgkmcnt(0)
	flat_load_dword v8, v[8:9] sc0 sc1
	s_waitcnt vmcnt(0) lgkmcnt(0)
	buffer_inv sc0 sc1
	v_mov_b32_e32 v9, v36
	v_cmp_ne_u32_e32 vcc, 0, v8
	s_and_saveexec_b64 s[14:15], vcc
	s_cbranch_execz .LBB0_119
; %bb.118:                              ;   in Loop: Header=BB0_116 Depth=4
	v_or_b32_e32 v9, 1, v36
	v_mov_b32_e32 v36, 1
	ds_write_b32 v0, v8
	s_trap 2
.LBB0_119:                              ;   in Loop: Header=BB0_116 Depth=4
	s_or_b64 exec, exec, s[14:15]
	v_mov_b32_e32 v8, v36
	s_mov_b32 s46, 0
	v_mov_b32_e32 v36, v9
	v_cmp_eq_u32_e32 vcc, 0, v8
	s_mov_b64 s[14:15], -1
	s_and_saveexec_b64 s[44:45], vcc
	s_cbranch_execz .LBB0_115
	s_branch .LBB0_121
.LBB0_120:                              ;   in Loop: Header=BB0_116 Depth=4
	v_mov_b32_e32 v8, 0
	v_cmp_eq_u32_e32 vcc, 0, v8
	s_mov_b64 s[14:15], -1
	s_and_saveexec_b64 s[44:45], vcc
	s_cbranch_execz .LBB0_115
.LBB0_121:                              ;   in Loop: Header=BB0_116 Depth=4
	s_waitcnt vmcnt(0)
	v_cmp_eq_u32_e32 vcc, v37, v3
	v_cmp_eq_u32_e64 s[14:15], v37, v5
	s_and_b64 s[14:15], vcc, s[14:15]
	s_orn2_b64 s[14:15], s[14:15], exec
	s_branch .LBB0_115
.LBB0_122:                              ;   in Loop: Header=BB0_66 Depth=2
	s_or_b64 exec, exec, s[36:37]
	s_or_b64 exec, exec, s[34:35]
	s_and_saveexec_b64 s[14:15], s[6:7]
	s_cbranch_execz .LBB0_70
.LBB0_123:                              ;   in Loop: Header=BB0_66 Depth=2
	s_and_saveexec_b64 vcc, s[26:27]
	s_xor_b64 s[34:35], exec, vcc
	s_cbranch_execz .LBB0_138
; %bb.124:                              ;   in Loop: Header=BB0_66 Depth=2
	s_and_saveexec_b64 s[36:37], s[8:9]
	s_cbranch_execz .LBB0_137
; %bb.125:                              ;   in Loop: Header=BB0_66 Depth=2
	s_mov_b64 s[40:41], exec
	v_mbcnt_lo_u32_b32 v2, s40, 0
	v_mbcnt_hi_u32_b32 v2, s41, v2
	v_cmp_eq_u32_e32 vcc, 0, v2
	s_waitcnt lgkmcnt(0)
	s_and_saveexec_b64 s[38:39], vcc
	s_cbranch_execz .LBB0_127
; %bb.126:                              ;   in Loop: Header=BB0_66 Depth=2
	s_bcnt1_i32_b64 vcc_lo, s[40:41]
	v_mov_b32_e32 v54, vcc_lo
	ds_add_u64 v0, v[54:55]
	s_trap 2
.LBB0_127:                              ;   in Loop: Header=BB0_66 Depth=2
	s_or_b64 exec, exec, s[38:39]
	s_trap 2
	ds_read_b64 v[2:3], v0
	s_waitcnt vmcnt(0)
	v_accvgpr_read_b32 v4, a20
	v_accvgpr_read_b32 v5, a21
	v_lshl_add_u64 v[50:51], v[50:51], 0, v[4:5]
	s_waitcnt lgkmcnt(0)
	v_cmp_lt_u64_e32 vcc, v[2:3], v[50:51]
	s_and_saveexec_b64 s[38:39], vcc
	s_cbranch_execz .LBB0_136
; %bb.128:                              ;   in Loop: Header=BB0_66 Depth=2
	s_mov_b32 s51, 0
	s_mov_b64 s[40:41], 0
                                        ; implicit-def: $sgpr42_sgpr43
                                        ; implicit-def: $sgpr44_sgpr45
	s_branch .LBB0_130
.LBB0_129:                              ;   in Loop: Header=BB0_130 Depth=3
	s_or_b64 exec, exec, s[48:49]
	s_and_b64 vcc, exec, vcc
	s_or_b64 s[40:41], vcc, s[40:41]
	s_andn2_b64 vcc, s[42:43], exec
	s_and_b64 s[42:43], s[44:45], exec
	s_or_b64 s[42:43], vcc, s[42:43]
	s_andn2_b64 exec, exec, s[40:41]
	s_cbranch_execz .LBB0_134
.LBB0_130:                              ;   Parent Loop BB0_21 Depth=1
                                        ;     Parent Loop BB0_66 Depth=2
                                        ; =>    This Inner Loop Header: Depth=3
	s_add_i32 s51, s51, 1
	s_cmpk_lg_i32 s51, 0x2710
	s_cselect_b64 s[46:47], -1, 0
	s_and_b64 vcc, exec, s[46:47]
                                        ; implicit-def: $sgpr48_sgpr49
	s_cbranch_vccnz .LBB0_132
; %bb.131:                              ;   in Loop: Header=BB0_130 Depth=3
	s_trap 2
	ds_read_b64 v[2:3], v0
	s_andn2_b64 s[46:47], s[46:47], exec
	s_mov_b32 s51, 0
	s_mov_b64 s[48:49], -1
	s_waitcnt lgkmcnt(0)
	flat_load_dword v2, v[2:3] sc0 sc1
	s_waitcnt vmcnt(0) lgkmcnt(0)
	buffer_inv sc0 sc1
	v_cmp_eq_u32_e32 vcc, 0, v2
	s_and_b64 vcc, vcc, exec
	s_or_b64 s[46:47], s[46:47], vcc
.LBB0_132:                              ;   in Loop: Header=BB0_130 Depth=3
	s_andn2_b64 s[44:45], s[44:45], exec
	s_and_b64 s[48:49], s[48:49], exec
	s_mov_b64 vcc, -1
	s_or_b64 s[44:45], s[44:45], s[48:49]
	s_and_saveexec_b64 s[48:49], s[46:47]
	s_cbranch_execz .LBB0_129
; %bb.133:                              ;   in Loop: Header=BB0_130 Depth=3
	s_sleep 1
	s_trap 2
	ds_read_b64 v[2:3], v0
	s_andn2_b64 s[44:45], s[44:45], exec
	s_waitcnt lgkmcnt(0)
	v_cmp_ge_u64_e32 vcc, v[2:3], v[50:51]
	s_orn2_b64 vcc, vcc, exec
	s_branch .LBB0_129
.LBB0_134:                              ;   in Loop: Header=BB0_66 Depth=2
	s_or_b64 exec, exec, s[40:41]
	s_and_saveexec_b64 vcc, s[42:43]
	s_xor_b64 vcc, exec, vcc
	s_cbranch_execz .LBB0_136
; %bb.135:                              ;   in Loop: Header=BB0_66 Depth=2
	v_mov_b32_e32 v2, 1
	ds_write_b32 v0, v2
	s_trap 2
.LBB0_136:                              ;   in Loop: Header=BB0_66 Depth=2
	s_or_b64 exec, exec, s[38:39]
	;;#ASMSTART
	s_wakeup
	;;#ASMEND
.LBB0_137:                              ;   in Loop: Header=BB0_66 Depth=2
	s_or_b64 exec, exec, s[36:37]
.LBB0_138:                              ;   in Loop: Header=BB0_66 Depth=2
	s_andn2_saveexec_b64 vcc, s[34:35]
	s_cbranch_execz .LBB0_140
; %bb.139:                              ;   in Loop: Header=BB0_66 Depth=2
	s_waitcnt lgkmcnt(0)
	s_barrier
.LBB0_140:                              ;   in Loop: Header=BB0_66 Depth=2
	s_or_b64 exec, exec, vcc
	s_or_b64 exec, exec, s[14:15]
	s_and_saveexec_b64 s[14:15], s[10:11]
	s_cbranch_execnz .LBB0_71
	s_branch .LBB0_72
.LBB0_141:                              ;   in Loop: Header=BB0_21 Depth=1
	v_accvgpr_write_b32 a35, v5
	v_accvgpr_write_b32 a34, v4
	v_mov_b64_e32 v[10:11], v[56:57]
	s_branch .LBB0_143
.LBB0_142:                              ;   in Loop: Header=BB0_21 Depth=1
	v_accvgpr_read_b32 v59, a3
	v_accvgpr_read_b32 v61, a1
	v_mov_b64_e32 v[10:11], v[56:57]
	v_accvgpr_read_b32 v58, a2
	v_accvgpr_read_b32 v60, a0
.LBB0_143:                              ;   in Loop: Header=BB0_21 Depth=1
	v_accvgpr_read_b32 v2, a34
	v_accvgpr_read_b32 v30, a5
	;; [unrolled: 1-line block ×3, first 2 shown]
; %bb.144:                              ;   in Loop: Header=BB0_21 Depth=1
	s_and_saveexec_b64 s[14:15], s[12:13]
	s_cbranch_execz .LBB0_164
; %bb.145:                              ;   in Loop: Header=BB0_21 Depth=1
	flat_load_dword v6, v[18:19]
	s_waitcnt vmcnt(0) lgkmcnt(0)
	v_accvgpr_read_b32 v4, a8
	v_accvgpr_read_b32 v8, a24
	v_lshlrev_b64 v[2:3], 3, v[2:3]
	v_and_b32_e32 v7, 7, v28
	v_accvgpr_read_b32 v5, a9
	v_accvgpr_read_b32 v9, a25
	v_lshl_add_u64 v[4:5], v[4:5], 0, v[2:3]
	v_lshl_add_u64 v[20:21], v[8:9], 0, v[2:3]
	v_mul_lo_u32 v2, v7, v62
	v_accvgpr_read_b32 v8, a14
	v_ashrrev_i32_e32 v3, 31, v2
	v_accvgpr_read_b32 v9, a15
	v_lshl_add_u64 v[56:57], v[2:3], 4, v[8:9]
	v_add_u32_e32 v27, 1, v28
	s_mov_b64 s[34:35], 0
	v_mov_b32_e32 v44, v0
	v_ashrrev_i32_e32 v7, 31, v6
	v_mul_lo_u32 v8, v41, v6
	v_mad_u64_u32 v[2:3], s[12:13], v40, v6, 0
	v_mul_lo_u32 v6, v40, v7
	v_add3_u32 v3, v3, v6, v8
	v_lshl_add_u64 v[2:3], v[2:3], 3, v[4:5]
	v_lshl_add_u64 v[42:43], v[0:1], 3, v[2:3]
	s_branch .LBB0_147
.LBB0_146:                              ;   in Loop: Header=BB0_147 Depth=2
	v_sub_u32_e32 v26, v26, v16
	v_cmp_gt_i32_e32 vcc, 1, v26
	v_lshl_add_u64 v[42:43], v[42:43], 0, v[24:25]
	v_lshl_add_u64 v[20:21], v[20:21], 0, v[24:25]
	s_or_b64 s[34:35], vcc, s[34:35]
	v_add_u32_e32 v44, v44, v16
	s_andn2_b64 exec, exec, s[34:35]
	s_cbranch_execz .LBB0_163
.LBB0_147:                              ;   Parent Loop BB0_21 Depth=1
                                        ; =>  This Loop Header: Depth=2
                                        ;       Child Loop BB0_151 Depth 3
	v_ashrrev_i32_e32 v45, 31, v44
	v_lshl_add_u64 v[52:53], v[44:45], 4, v[56:57]
	global_load_dwordx2 v[6:7], v[42:43], off nt
	global_load_dwordx4 v[2:5], v[52:53], off nt
	v_cmp_eq_u32_e32 vcc, 0, v36
	s_and_saveexec_b64 s[36:37], vcc
	s_cbranch_execz .LBB0_159
; %bb.148:                              ;   in Loop: Header=BB0_147 Depth=2
	s_waitcnt vmcnt(0)
	v_cmp_ne_u32_e32 vcc, v27, v3
	v_cmp_ne_u32_e64 s[12:13], v27, v5
	s_or_b64 s[12:13], vcc, s[12:13]
	v_mov_b32_e32 v36, 0
	s_and_saveexec_b64 s[38:39], s[12:13]
	s_cbranch_execz .LBB0_158
; %bb.149:                              ;   in Loop: Header=BB0_147 Depth=2
	s_mov_b32 s44, 1
	s_mov_b64 s[40:41], 0
	v_mov_b32_e32 v36, 0
	s_branch .LBB0_151
.LBB0_150:                              ;   in Loop: Header=BB0_151 Depth=3
	s_or_b64 exec, exec, s[42:43]
	s_and_b64 s[12:13], exec, s[12:13]
	s_or_b64 s[40:41], s[12:13], s[40:41]
	s_andn2_b64 exec, exec, s[40:41]
	s_cbranch_execz .LBB0_157
.LBB0_151:                              ;   Parent Loop BB0_21 Depth=1
                                        ;     Parent Loop BB0_147 Depth=2
                                        ; =>    This Inner Loop Header: Depth=3
	global_load_dwordx4 v[2:5], v[52:53], off nt
	s_add_i32 s44, s44, 1
	s_cmpk_lg_i32 s44, 0x2710
	s_cbranch_scc1 .LBB0_155
; %bb.152:                              ;   in Loop: Header=BB0_151 Depth=3
	s_trap 2
	ds_read_b64 v[8:9], v0
	s_waitcnt vmcnt(0) lgkmcnt(0)
	flat_load_dword v8, v[8:9] sc0 sc1
	s_waitcnt vmcnt(0) lgkmcnt(0)
	buffer_inv sc0 sc1
	v_cmp_ne_u32_e32 vcc, 0, v8
	s_and_saveexec_b64 s[12:13], vcc
	s_cbranch_execz .LBB0_154
; %bb.153:                              ;   in Loop: Header=BB0_151 Depth=3
	v_mov_b32_e32 v36, 1
	ds_write_b32 v0, v8
	s_trap 2
.LBB0_154:                              ;   in Loop: Header=BB0_151 Depth=3
	s_or_b64 exec, exec, s[12:13]
	s_mov_b32 s44, 0
	v_mov_b32_e32 v8, v36
	v_cmp_eq_u32_e32 vcc, 0, v8
	s_mov_b64 s[12:13], -1
	s_and_saveexec_b64 s[42:43], vcc
	s_cbranch_execz .LBB0_150
	s_branch .LBB0_156
.LBB0_155:                              ;   in Loop: Header=BB0_151 Depth=3
	v_mov_b32_e32 v8, 0
	v_cmp_eq_u32_e32 vcc, 0, v8
	s_mov_b64 s[12:13], -1
	s_and_saveexec_b64 s[42:43], vcc
	s_cbranch_execz .LBB0_150
.LBB0_156:                              ;   in Loop: Header=BB0_151 Depth=3
	s_waitcnt vmcnt(0)
	v_cmp_eq_u32_e32 vcc, v27, v3
	v_cmp_eq_u32_e64 s[12:13], v27, v5
	s_and_b64 s[12:13], vcc, s[12:13]
	s_orn2_b64 s[12:13], s[12:13], exec
	s_branch .LBB0_150
.LBB0_157:                              ;   in Loop: Header=BB0_147 Depth=2
	s_or_b64 exec, exec, s[40:41]
.LBB0_158:                              ;   in Loop: Header=BB0_147 Depth=2
	s_or_b64 exec, exec, s[38:39]
.LBB0_159:                              ;   in Loop: Header=BB0_147 Depth=2
	s_or_b64 exec, exec, s[36:37]
	s_waitcnt vmcnt(0)
	v_mul_lo_u32 v4, v4, v6
	v_mul_lo_u32 v5, v2, v7
	v_mad_u64_u32 v[2:3], s[12:13], v2, v6, 0
	v_add3_u32 v3, v3, v5, v4
	v_mov_b32_e32 v4, v30
	;;#ASMSTART
	;;#ASMEND
	s_mov_b64 s[12:13], -1
	v_cmp_ne_u32_e32 vcc, 0, v4
	s_cmp_lg_u64 vcc, exec
	s_cbranch_scc0 .LBB0_161
; %bb.160:                              ;   in Loop: Header=BB0_147 Depth=2
	flat_store_dwordx2 v[20:21], v[2:3]
	s_mov_b64 s[12:13], 0
.LBB0_161:                              ;   in Loop: Header=BB0_147 Depth=2
	s_andn2_b64 vcc, exec, s[12:13]
	s_cbranch_vccnz .LBB0_146
; %bb.162:                              ;   in Loop: Header=BB0_147 Depth=2
	global_store_dwordx2 v[20:21], v[2:3], off
	s_branch .LBB0_146
.LBB0_163:                              ;   in Loop: Header=BB0_21 Depth=1
	s_or_b64 exec, exec, s[34:35]
.LBB0_164:                              ;   in Loop: Header=BB0_21 Depth=1
	s_or_b64 exec, exec, s[14:15]
	v_accvgpr_read_b32 v21, a7
	v_accvgpr_read_b32 v57, a27
	;; [unrolled: 1-line block ×4, first 2 shown]
	s_and_saveexec_b64 s[12:13], s[6:7]
	s_cbranch_execz .LBB0_183
; %bb.165:                              ;   in Loop: Header=BB0_21 Depth=1
	s_and_saveexec_b64 s[14:15], s[26:27]
	s_xor_b64 s[14:15], exec, s[14:15]
	s_cbranch_execz .LBB0_180
; %bb.166:                              ;   in Loop: Header=BB0_21 Depth=1
	s_and_saveexec_b64 s[34:35], s[8:9]
	s_cbranch_execz .LBB0_179
; %bb.167:                              ;   in Loop: Header=BB0_21 Depth=1
	s_mov_b64 s[38:39], exec
	v_mbcnt_lo_u32_b32 v2, s38, 0
	v_mbcnt_hi_u32_b32 v2, s39, v2
	v_cmp_eq_u32_e32 vcc, 0, v2
	s_waitcnt lgkmcnt(0)
	s_and_saveexec_b64 s[36:37], vcc
	s_cbranch_execz .LBB0_169
; %bb.168:                              ;   in Loop: Header=BB0_21 Depth=1
	s_bcnt1_i32_b64 vcc_lo, s[38:39]
	v_mov_b32_e32 v54, vcc_lo
	ds_add_u64 v0, v[54:55]
	s_trap 2
.LBB0_169:                              ;   in Loop: Header=BB0_21 Depth=1
	s_or_b64 exec, exec, s[36:37]
	s_trap 2
	ds_read_b64 v[2:3], v0
	s_waitcnt vmcnt(0)
	v_accvgpr_read_b32 v4, a20
	v_accvgpr_read_b32 v5, a21
	v_lshl_add_u64 v[50:51], v[50:51], 0, v[4:5]
	s_waitcnt lgkmcnt(0)
	v_cmp_lt_u64_e32 vcc, v[2:3], v[50:51]
	s_and_saveexec_b64 s[36:37], vcc
	s_cbranch_execz .LBB0_178
; %bb.170:                              ;   in Loop: Header=BB0_21 Depth=1
	s_mov_b32 s48, 0
	s_mov_b64 s[38:39], 0
                                        ; implicit-def: $sgpr40_sgpr41
                                        ; implicit-def: $sgpr42_sgpr43
	s_branch .LBB0_172
.LBB0_171:                              ;   in Loop: Header=BB0_172 Depth=2
	s_or_b64 exec, exec, s[46:47]
	s_and_b64 vcc, exec, vcc
	s_or_b64 s[38:39], vcc, s[38:39]
	s_andn2_b64 vcc, s[40:41], exec
	s_and_b64 s[40:41], s[42:43], exec
	s_or_b64 s[40:41], vcc, s[40:41]
	s_andn2_b64 exec, exec, s[38:39]
	s_cbranch_execz .LBB0_176
.LBB0_172:                              ;   Parent Loop BB0_21 Depth=1
                                        ; =>  This Inner Loop Header: Depth=2
	s_add_i32 s48, s48, 1
	s_cmpk_lg_i32 s48, 0x2710
	s_cselect_b64 s[44:45], -1, 0
	s_and_b64 vcc, exec, s[44:45]
                                        ; implicit-def: $sgpr46_sgpr47
	s_cbranch_vccnz .LBB0_174
; %bb.173:                              ;   in Loop: Header=BB0_172 Depth=2
	s_trap 2
	ds_read_b64 v[2:3], v0
	s_andn2_b64 s[44:45], s[44:45], exec
	s_mov_b32 s48, 0
	s_mov_b64 s[46:47], -1
	s_waitcnt lgkmcnt(0)
	flat_load_dword v2, v[2:3] sc0 sc1
	s_waitcnt vmcnt(0) lgkmcnt(0)
	buffer_inv sc0 sc1
	v_cmp_eq_u32_e32 vcc, 0, v2
	s_and_b64 vcc, vcc, exec
	s_or_b64 s[44:45], s[44:45], vcc
.LBB0_174:                              ;   in Loop: Header=BB0_172 Depth=2
	s_andn2_b64 s[42:43], s[42:43], exec
	s_and_b64 s[46:47], s[46:47], exec
	s_mov_b64 vcc, -1
	s_or_b64 s[42:43], s[42:43], s[46:47]
	s_and_saveexec_b64 s[46:47], s[44:45]
	s_cbranch_execz .LBB0_171
; %bb.175:                              ;   in Loop: Header=BB0_172 Depth=2
	s_sleep 1
	s_trap 2
	ds_read_b64 v[2:3], v0
	s_andn2_b64 s[42:43], s[42:43], exec
	s_waitcnt lgkmcnt(0)
	v_cmp_ge_u64_e32 vcc, v[2:3], v[50:51]
	s_orn2_b64 vcc, vcc, exec
	s_branch .LBB0_171
.LBB0_176:                              ;   in Loop: Header=BB0_21 Depth=1
	s_or_b64 exec, exec, s[38:39]
	s_and_saveexec_b64 vcc, s[40:41]
	s_xor_b64 vcc, exec, vcc
	s_cbranch_execz .LBB0_178
; %bb.177:                              ;   in Loop: Header=BB0_21 Depth=1
	v_mov_b32_e32 v2, 1
	ds_write_b32 v0, v2
	s_trap 2
.LBB0_178:                              ;   in Loop: Header=BB0_21 Depth=1
	s_or_b64 exec, exec, s[36:37]
	;;#ASMSTART
	s_wakeup
	;;#ASMEND
.LBB0_179:                              ;   in Loop: Header=BB0_21 Depth=1
	s_or_b64 exec, exec, s[34:35]
.LBB0_180:                              ;   in Loop: Header=BB0_21 Depth=1
	s_andn2_saveexec_b64 s[14:15], s[14:15]
	s_cbranch_execz .LBB0_182
; %bb.181:                              ;   in Loop: Header=BB0_21 Depth=1
	s_waitcnt lgkmcnt(0)
	s_barrier
.LBB0_182:                              ;   in Loop: Header=BB0_21 Depth=1
	s_or_b64 exec, exec, s[14:15]
.LBB0_183:                              ;   in Loop: Header=BB0_21 Depth=1
	s_or_b64 exec, exec, s[12:13]
	s_and_saveexec_b64 s[12:13], s[10:11]
	s_cbranch_execz .LBB0_20
; %bb.184:                              ;   in Loop: Header=BB0_21 Depth=1
	v_accvgpr_read_b32 v2, a16
	v_lshl_add_u64 v[34:35], v[34:35], 0, 1
	v_accvgpr_read_b32 v3, a17
	flat_store_dwordx2 v[2:3], v[34:35] sc0 sc1
	s_branch .LBB0_20
.LBB0_185:
	s_or_b64 exec, exec, s[24:25]
	v_accvgpr_read_b32 v21, a11
	v_accvgpr_read_b32 v27, a13
	;; [unrolled: 1-line block ×5, first 2 shown]
.LBB0_186:
	s_or_b64 exec, exec, s[20:21]
; %bb.187:
	s_and_saveexec_b64 s[2:3], s[18:19]
	s_cbranch_execnz .LBB0_190
; %bb.188:
	s_or_b64 exec, exec, s[2:3]
	s_and_saveexec_b64 s[2:3], s[0:1]
	s_cbranch_execnz .LBB0_191
.LBB0_189:
	s_or_b64 exec, exec, s[2:3]
	v_cmp_ne_u32_e32 vcc, 64, v16
	s_and_saveexec_b64 s[0:1], vcc
	s_cbranch_execnz .LBB0_192
	s_branch .LBB0_209
.LBB0_190:
	s_waitcnt vmcnt(0) lgkmcnt(0)
	flat_store_dwordx2 v[26:27], v[34:35] offset:104
	s_or_b64 exec, exec, s[2:3]
	s_and_saveexec_b64 s[2:3], s[0:1]
	s_cbranch_execz .LBB0_189
.LBB0_191:
	s_waitcnt vmcnt(0) lgkmcnt(0)
	flat_store_dwordx2 v[20:21], v[14:15] offset:104
	s_or_b64 exec, exec, s[2:3]
	v_cmp_ne_u32_e32 vcc, 64, v16
	s_and_saveexec_b64 s[0:1], vcc
	s_cbranch_execz .LBB0_209
.LBB0_192:
	v_cmp_ne_u32_sdwa s[2:3], v17, v16 src0_sel:WORD_0 src1_sel:DWORD
	s_and_saveexec_b64 s[4:5], s[2:3]
	s_xor_b64 s[2:3], exec, s[4:5]
	s_cbranch_execz .LBB0_207
; %bb.193:
	v_and_b32_e32 v0, 63, v31
	v_cmp_eq_u32_e32 vcc, 0, v0
	s_and_saveexec_b64 s[4:5], vcc
	s_cbranch_execz .LBB0_206
; %bb.194:
	s_mov_b64 s[8:9], exec
	v_mbcnt_lo_u32_b32 v0, s8, 0
	v_mbcnt_hi_u32_b32 v0, s9, v0
	v_cmp_eq_u32_e32 vcc, 0, v0
	s_waitcnt lgkmcnt(0)
	s_and_saveexec_b64 s[6:7], vcc
	s_cbranch_execz .LBB0_196
; %bb.195:
	s_bcnt1_i32_b64 s8, s[8:9]
	v_mov_b32_e32 v0, s8
	v_mov_b32_e32 v1, 0
	ds_add_u64 v0, v[0:1]
	s_trap 2
.LBB0_196:
	s_or_b64 exec, exec, s[6:7]
	v_ashrrev_i32_e32 v0, 31, v16
	v_lshrrev_b32_e32 v0, 26, v0
	s_trap 2
	ds_read_b64 v[2:3], v0
	v_add_u32_e32 v0, v16, v0
	v_ashrrev_i32_e32 v0, 6, v0
	v_ashrrev_i32_e32 v1, 31, v0
	v_lshl_add_u64 v[0:1], v[50:51], 0, v[0:1]
	s_waitcnt lgkmcnt(0)
	v_cmp_lt_u64_e32 vcc, v[2:3], v[0:1]
	s_and_saveexec_b64 s[6:7], vcc
	s_cbranch_execz .LBB0_205
; %bb.197:
	s_mov_b32 s20, 0
	s_mov_b64 s[8:9], 0
                                        ; implicit-def: $sgpr10_sgpr11
                                        ; implicit-def: $sgpr12_sgpr13
	s_branch .LBB0_199
.LBB0_198:                              ;   in Loop: Header=BB0_199 Depth=1
	s_or_b64 exec, exec, s[18:19]
	s_and_b64 s[14:15], exec, s[16:17]
	s_or_b64 s[8:9], s[14:15], s[8:9]
	s_andn2_b64 s[10:11], s[10:11], exec
	s_and_b64 s[14:15], s[12:13], exec
	s_or_b64 s[10:11], s[10:11], s[14:15]
	s_andn2_b64 exec, exec, s[8:9]
	s_cbranch_execz .LBB0_203
.LBB0_199:                              ; =>This Inner Loop Header: Depth=1
	s_add_i32 s20, s20, 1
	s_cmpk_lg_i32 s20, 0x2710
	s_cselect_b64 s[14:15], -1, 0
	s_and_b64 vcc, exec, s[14:15]
                                        ; implicit-def: $sgpr18_sgpr19
	s_cbranch_vccnz .LBB0_201
; %bb.200:                              ;   in Loop: Header=BB0_199 Depth=1
	s_trap 2
	ds_read_b64 v[2:3], v0
	s_andn2_b64 s[14:15], s[14:15], exec
	s_mov_b32 s20, 0
	s_mov_b64 s[18:19], -1
	s_waitcnt vmcnt(0) lgkmcnt(0)
	flat_load_dword v2, v[2:3] sc0 sc1
	s_waitcnt vmcnt(0) lgkmcnt(0)
	buffer_inv sc0 sc1
	v_cmp_eq_u32_e32 vcc, 0, v2
	s_and_b64 s[16:17], vcc, exec
	s_or_b64 s[14:15], s[14:15], s[16:17]
.LBB0_201:                              ;   in Loop: Header=BB0_199 Depth=1
	s_andn2_b64 s[12:13], s[12:13], exec
	s_and_b64 s[18:19], s[18:19], exec
	s_mov_b64 s[16:17], -1
	s_or_b64 s[12:13], s[12:13], s[18:19]
	s_and_saveexec_b64 s[18:19], s[14:15]
	s_cbranch_execz .LBB0_198
; %bb.202:                              ;   in Loop: Header=BB0_199 Depth=1
	s_sleep 1
	s_trap 2
	ds_read_b64 v[2:3], v0
	s_andn2_b64 s[12:13], s[12:13], exec
	s_waitcnt lgkmcnt(0)
	v_cmp_ge_u64_e32 vcc, v[2:3], v[0:1]
	s_orn2_b64 s[16:17], vcc, exec
	s_branch .LBB0_198
.LBB0_203:
	s_or_b64 exec, exec, s[8:9]
	s_and_saveexec_b64 s[8:9], s[10:11]
	s_xor_b64 s[8:9], exec, s[8:9]
	s_cbranch_execz .LBB0_205
; %bb.204:
	v_mov_b32_e32 v0, 1
	ds_write_b32 v0, v0
	s_trap 2
.LBB0_205:
	s_or_b64 exec, exec, s[6:7]
	;;#ASMSTART
	s_wakeup
	;;#ASMEND
.LBB0_206:
	s_or_b64 exec, exec, s[4:5]
.LBB0_207:
	s_andn2_saveexec_b64 s[2:3], s[2:3]
	s_cbranch_execz .LBB0_209
; %bb.208:
	s_waitcnt lgkmcnt(0)
	s_barrier
.LBB0_209:
	s_or_b64 exec, exec, s[0:1]
	scratch_load_dword a35, off, s32        ; 4-byte Folded Reload
	scratch_load_dword a34, off, s32 offset:4 ; 4-byte Folded Reload
	scratch_load_dword a33, off, s32 offset:8 ; 4-byte Folded Reload
	;; [unrolled: 1-line block ×18, first 2 shown]
	v_readlane_b32 s30, v63, 18
	v_readlane_b32 s31, v63, 19
	;; [unrolled: 1-line block ×20, first 2 shown]
	s_or_saveexec_b64 s[0:1], -1
	scratch_load_dword v63, off, s32 offset:76 ; 4-byte Folded Reload
	s_mov_b64 exec, s[0:1]
	s_waitcnt vmcnt(0) lgkmcnt(0)
	s_setpc_b64 s[30:31]
.Lfunc_end0:
	.size	_ZN12_GLOBAL__N_17runRingIm8FuncProdImE7ProtoLLLi0ELi1ELi0EEEviiP15ncclDevWorkColl, .Lfunc_end0-_ZN12_GLOBAL__N_17runRingIm8FuncProdImE7ProtoLLLi0ELi1ELi0EEEviiP15ncclDevWorkColl
                                        ; -- End function
	.section	.AMDGPU.csdata,"",@progbits
; Function info:
; codeLenInByte = 7148
; NumSgprs: 58
; NumVgprs: 64
; NumAgprs: 36
; TotalNumVgprs: 100
; ScratchSize: 84
; MemoryBound: 0
	.text
	.p2align	2                               ; -- Begin function _Z48ncclDevFunc_ReduceScatter_RING_LL_Prod_u64_0_0_1v
	.type	_Z48ncclDevFunc_ReduceScatter_RING_LL_Prod_u64_0_0_1v,@function
_Z48ncclDevFunc_ReduceScatter_RING_LL_Prod_u64_0_0_1v: ; @_Z48ncclDevFunc_ReduceScatter_RING_LL_Prod_u64_0_0_1v
; %bb.0:
	s_waitcnt vmcnt(0) expcnt(0) lgkmcnt(0)
	s_mov_b32 s0, s33
	s_mov_b32 s33, s32
	s_or_saveexec_b64 s[2:3], -1
	scratch_store_dword off, v42, s33 offset:12 ; 4-byte Folded Spill
	s_mov_b64 exec, s[2:3]
	v_writelane_b32 v42, s0, 28
	s_add_i32 s32, s32, 32
	scratch_store_dword off, v40, s33 offset:8 ; 4-byte Folded Spill
	scratch_store_dword off, v41, s33 offset:4 ; 4-byte Folded Spill
	scratch_store_dword off, v63, s33       ; 4-byte Folded Spill
	v_writelane_b32 v42, s34, 0
	v_writelane_b32 v42, s35, 1
	v_writelane_b32 v42, s36, 2
	v_writelane_b32 v42, s37, 3
	v_writelane_b32 v42, s38, 4
	v_writelane_b32 v42, s39, 5
	v_writelane_b32 v42, s40, 6
	v_writelane_b32 v42, s41, 7
	v_writelane_b32 v42, s42, 8
	v_writelane_b32 v42, s43, 9
	v_writelane_b32 v42, s44, 10
	v_writelane_b32 v42, s45, 11
	v_writelane_b32 v42, s46, 12
	v_writelane_b32 v42, s47, 13
	v_writelane_b32 v42, s48, 14
	v_writelane_b32 v42, s49, 15
	v_writelane_b32 v42, s50, 16
	v_writelane_b32 v42, s51, 17
	v_writelane_b32 v42, s52, 18
	v_writelane_b32 v42, s53, 19
	v_writelane_b32 v42, s54, 20
	v_writelane_b32 v42, s55, 21
	v_writelane_b32 v42, s56, 22
	v_writelane_b32 v42, s57, 23
	v_writelane_b32 v42, s58, 24
	v_writelane_b32 v42, s59, 25
	v_writelane_b32 v42, s30, 26
	s_nop 1
	v_writelane_b32 v42, s31, 27
	s_trap 2
	ds_read_b32 v0, v0
	s_mov_b32 s54, s12
	s_mov_b64 s[52:53], s[8:9]
	s_waitcnt lgkmcnt(0)
	v_cmp_gt_i32_e32 vcc, 1, v0
	s_cbranch_vccnz .LBB1_8
; %bb.1:
	s_mov_b32 s55, 0
	v_and_b32_e32 v40, 0x3ff, v31
	s_mov_b64 s[56:57], src_shared_base
	v_mov_b32_e32 v41, 6
	s_branch .LBB1_3
.LBB1_2:                                ;   in Loop: Header=BB1_3 Depth=1
	s_or_b64 exec, exec, s[58:59]
	s_trap 2
	ds_read_b32 v0, v0
	s_add_i32 s55, s55, 1
	s_waitcnt lgkmcnt(0)
	v_cmp_lt_i32_e32 vcc, s55, v0
	s_cbranch_vccz .LBB1_8
.LBB1_3:                                ; =>This Inner Loop Header: Depth=1
	s_trap 2
	ds_read_b32 v0, v0
	s_cmp_eq_u32 s55, 0
	s_cbranch_scc1 .LBB1_6
; %bb.4:                                ;   in Loop: Header=BB1_3 Depth=1
	s_trap 2
	s_waitcnt lgkmcnt(0)
	ds_read_b32 v1, v0
	s_waitcnt lgkmcnt(0)
	v_xor_b32_e32 v1, v1, v0
	v_and_b32_e32 v1, 0xff0000, v1
	v_cmp_eq_u32_e32 vcc, 0, v1
	s_cbranch_vccnz .LBB1_6
; %bb.5:                                ;   in Loop: Header=BB1_3 Depth=1
	s_barrier
	ds_read_b32 v0, v0
.LBB1_6:                                ;   in Loop: Header=BB1_3 Depth=1
	s_waitcnt lgkmcnt(0)
	v_lshlrev_b32_sdwa v1, v41, v0 dst_sel:DWORD dst_unused:UNUSED_PAD src0_sel:DWORD src1_sel:BYTE_2
	v_cmp_lt_u32_e32 vcc, v40, v1
	s_and_saveexec_b64 s[58:59], vcc
	s_cbranch_execz .LBB1_2
; %bb.7:                                ;   in Loop: Header=BB1_3 Depth=1
	s_mov_b64 s[8:9], s[52:53]
	s_mov_b32 s12, s54
	v_mov_b32_e32 v0, v40
	v_mov_b32_e32 v3, s57
	s_getpc_b64 s[0:1]
	s_add_u32 s0, s0, _ZN12_GLOBAL__N_17runRingIm8FuncProdImE7ProtoLLLi0ELi1ELi0EEEviiP15ncclDevWorkColl@rel32@lo+4
	s_addc_u32 s1, s1, _ZN12_GLOBAL__N_17runRingIm8FuncProdImE7ProtoLLLi0ELi1ELi0EEEviiP15ncclDevWorkColl@rel32@hi+12
	s_swappc_b64 s[30:31], s[0:1]
	s_branch .LBB1_2
.LBB1_8:
	scratch_load_dword v63, off, s33        ; 4-byte Folded Reload
	scratch_load_dword v41, off, s33 offset:4 ; 4-byte Folded Reload
	scratch_load_dword v40, off, s33 offset:8 ; 4-byte Folded Reload
	v_readlane_b32 s30, v42, 26
	v_readlane_b32 s31, v42, 27
	;; [unrolled: 1-line block ×29, first 2 shown]
	s_or_saveexec_b64 s[2:3], -1
	scratch_load_dword v42, off, s33 offset:12 ; 4-byte Folded Reload
	s_mov_b64 exec, s[2:3]
	s_addk_i32 s32, 0xffe0
	s_mov_b32 s33, s0
	s_waitcnt vmcnt(0)
	s_setpc_b64 s[30:31]
.Lfunc_end1:
	.size	_Z48ncclDevFunc_ReduceScatter_RING_LL_Prod_u64_0_0_1v, .Lfunc_end1-_Z48ncclDevFunc_ReduceScatter_RING_LL_Prod_u64_0_0_1v
                                        ; -- End function
	.section	.AMDGPU.csdata,"",@progbits
; Function info:
; codeLenInByte = 808
; NumSgprs: 66
; NumVgprs: 64
; NumAgprs: 36
; TotalNumVgprs: 100
; ScratchSize: 116
; MemoryBound: 0
	.text
	.p2align	2                               ; -- Begin function _ZN12_GLOBAL__N_17runRingIm8FuncProdImE7ProtoLLLi0ELi2ELi0EEEviiP15ncclDevWorkColl
	.type	_ZN12_GLOBAL__N_17runRingIm8FuncProdImE7ProtoLLLi0ELi2ELi0EEEviiP15ncclDevWorkColl,@function
_ZN12_GLOBAL__N_17runRingIm8FuncProdImE7ProtoLLLi0ELi2ELi0EEEviiP15ncclDevWorkColl: ; @_ZN12_GLOBAL__N_17runRingIm8FuncProdImE7ProtoLLLi0ELi2ELi0EEEviiP15ncclDevWorkColl
; %bb.0:
	s_waitcnt vmcnt(0) expcnt(0) lgkmcnt(0)
	s_or_saveexec_b64 s[0:1], -1
	scratch_store_dword off, v63, s32 offset:76 ; 4-byte Folded Spill
	s_mov_b64 exec, s[0:1]
	scratch_store_dword off, v40, s32 offset:72 ; 4-byte Folded Spill
	scratch_store_dword off, v41, s32 offset:68 ; 4-byte Folded Spill
	;; [unrolled: 1-line block ×18, first 2 shown]
	scratch_store_dword off, a35, s32       ; 4-byte Folded Spill
	v_writelane_b32 v63, s34, 0
	v_writelane_b32 v63, s35, 1
	;; [unrolled: 1-line block ×19, first 2 shown]
	s_nop 1
	v_writelane_b32 v63, s31, 19
	s_trap 2
	flat_load_dword v5, v[2:3]
	flat_load_dwordx4 v[56:59], v[2:3] offset:72
	flat_load_dwordx2 v[8:9], v[2:3] offset:88
	v_mov_b32_e32 v16, v1
	ds_read_b32 v1, v0
	ds_read_b64 v[18:19], v0
                                        ; implicit-def: $vgpr22_vgpr23
                                        ; implicit-def: $vgpr60_vgpr61
	s_waitcnt lgkmcnt(0)
	v_readfirstlane_b32 s16, v1
	s_waitcnt vmcnt(0)
	v_not_b32_sdwa v4, v5 dst_sel:DWORD dst_unused:UNUSED_PAD src0_sel:BYTE_0
	v_add_u32_sdwa v6, v5, v4 dst_sel:DWORD dst_unused:UNUSED_PAD src0_sel:BYTE_1 src1_sel:DWORD
	v_ashrrev_i32_e32 v7, 31, v6
	v_mul_lo_u32 v10, v59, v6
	v_mad_u64_u32 v[24:25], s[0:1], v58, v6, 0
	v_mul_lo_u32 v6, v58, v7
	v_add3_u32 v25, v25, v6, v10
	v_cmp_ne_u32_sdwa s[0:1], v5, v1 src0_sel:BYTE_0 src1_sel:DWORD
	s_and_saveexec_b64 s[2:3], s[0:1]
	s_xor_b64 s[0:1], exec, s[2:3]
	s_cbranch_execz .LBB2_6
; %bb.1:
	v_cmp_ne_u32_sdwa s[2:3], v5, v1 src0_sel:BYTE_1 src1_sel:DWORD
                                        ; implicit-def: $vgpr22_vgpr23
                                        ; implicit-def: $vgpr60_vgpr61
	s_and_saveexec_b64 s[4:5], s[2:3]
	s_xor_b64 s[2:3], exec, s[4:5]
	s_cbranch_execz .LBB2_3
; %bb.2:
	flat_load_dwordx2 v[6:7], v[2:3] offset:96
	v_add_u32_e32 v1, v1, v4
	v_ashrrev_i32_e32 v4, 31, v1
	v_mul_lo_u32 v4, v58, v4
	v_mul_lo_u32 v5, v59, v1
	v_mad_u64_u32 v[60:61], s[4:5], v58, v1, v[56:57]
	v_add3_u32 v61, v5, v61, v4
	s_waitcnt vmcnt(0) lgkmcnt(0)
	v_lshrrev_b64 v[22:23], 20, v[6:7]
.LBB2_3:
	s_andn2_saveexec_b64 s[2:3], s[2:3]
	s_cbranch_execz .LBB2_5
; %bb.4:
	flat_load_dword v1, v[2:3] offset:100
	v_lshl_add_u64 v[60:61], v[24:25], 0, v[56:57]
	v_mov_b64_e32 v[58:59], v[8:9]
	s_waitcnt vmcnt(0) lgkmcnt(0)
	v_lshrrev_b32_e32 v22, 9, v1
.LBB2_5:
	s_or_b64 exec, exec, s[2:3]
.LBB2_6:
	s_andn2_saveexec_b64 s[0:1], s[0:1]
	s_cbranch_execz .LBB2_8
; %bb.7:
	flat_load_dwordx2 v[4:5], v[2:3] offset:96
	v_mov_b64_e32 v[60:61], 0
	v_mov_b64_e32 v[58:59], v[56:57]
	s_waitcnt vmcnt(0) lgkmcnt(0)
	v_lshlrev_b64 v[22:23], 1, v[4:5]
.LBB2_8:
	s_or_b64 exec, exec, s[0:1]
	flat_load_ushort v5, v[2:3] offset:8
	flat_load_dword v4, v[2:3] offset:4
	s_load_dword s0, s[8:9], 0x0
	flat_load_dwordx4 a[6:9], v[2:3] offset:16
	v_mov_b32_e32 v3, 0
	v_ashrrev_i32_e32 v1, 31, v0
	v_lshrrev_b32_e32 v6, 26, v1
	s_waitcnt lgkmcnt(0)
	s_cmp_lt_u32 s12, s0
	s_cselect_b32 s0, 12, 18
	s_add_u32 s0, s8, s0
	s_addc_u32 s1, s9, 0
	global_load_ushort v17, v3, s[0:1]
	s_trap 2
	ds_read_b32 v2, v0
	s_mov_b32 s2, 0
	v_mov_b64_e32 v[20:21], 0
	s_waitcnt lgkmcnt(0)
	v_cmp_gt_i32_e32 vcc, 0, v2
	s_and_b64 vcc, exec, vcc
	s_waitcnt vmcnt(0)
	v_lshrrev_b64 v[4:5], 31, v[4:5]
	v_and_b32_e32 v7, 3, v4
	v_add_u32_e32 v4, v0, v6
	v_and_b32_e32 v4, 0xffffffc0, v4
	v_sub_u32_e32 v6, v0, v4
	v_cmp_eq_u32_e64 s[0:1], 0, v6
	s_cbranch_vccnz .LBB2_10
; %bb.9:
	s_trap 2
	ds_read_b64 v[4:5], v0
	v_lshlrev_b64 v[10:11], 3, v[2:3]
	v_and_b32_e32 v3, 0xffff, v7
	s_movk_i32 s2, 0xa8
	s_waitcnt lgkmcnt(0)
	v_lshl_add_u64 v[4:5], v[4:5], 0, v[10:11]
	flat_load_dwordx2 v[4:5], v[4:5]
	s_waitcnt vmcnt(0) lgkmcnt(0)
	v_mad_u64_u32 v[4:5], s[2:3], v3, s2, v[4:5]
	flat_load_dwordx2 a[14:15], v[4:5] offset:504
	flat_load_dwordx2 v[28:29], v[4:5] offset:608
	s_mov_b64 s[2:3], 0x1f8
	v_lshl_add_u64 v[4:5], v[4:5], 0, s[2:3]
	v_cndmask_b32_e64 v27, 0, v5, s[0:1]
	v_cndmask_b32_e64 v26, 0, v4, s[0:1]
	s_mov_b32 s2, 1
	s_branch .LBB2_11
.LBB2_10:
	v_mov_b64_e32 v[26:27], v[20:21]
                                        ; implicit-def: $vgpr28_vgpr29
                                        ; implicit-def: $agpr14_agpr15
.LBB2_11:
	s_trap 2
	ds_read_b32 v4, v0
	s_waitcnt lgkmcnt(0)
	v_cmp_gt_i32_e32 vcc, 0, v4
	s_cbranch_vccnz .LBB2_13
; %bb.12:
	s_trap 2
	ds_read_b64 v[10:11], v0
	v_mov_b32_e32 v5, 0
	v_lshlrev_b64 v[4:5], 3, v[4:5]
	v_and_b32_e32 v3, 0xffff, v7
	s_movk_i32 s0, 0xa8
	s_waitcnt lgkmcnt(0)
	v_lshl_add_u64 v[4:5], v[10:11], 0, v[4:5]
	flat_load_dwordx2 v[4:5], v[4:5]
	v_cmp_eq_u32_e32 vcc, 0, v6
	s_waitcnt vmcnt(0) lgkmcnt(0)
	v_mad_u64_u32 v[4:5], s[0:1], v3, s0, v[4:5]
	flat_load_dwordx2 v[32:33], v[4:5]
	flat_load_dwordx2 v[10:11], v[4:5] offset:104
	v_cndmask_b32_e32 v21, 0, v5, vcc
	v_cndmask_b32_e32 v20, 0, v4, vcc
	s_branch .LBB2_14
.LBB2_13:
                                        ; implicit-def: $vgpr10_vgpr11
                                        ; implicit-def: $vgpr32_vgpr33
.LBB2_14:
	v_subrev_u32_e32 v3, 64, v16
	v_mov_b64_e32 v[12:13], 0
	v_cmp_le_i32_e32 vcc, v3, v0
	v_cmp_gt_i32_e64 s[0:1], s2, v6
	v_accvgpr_write_b32 a17, v13
	s_and_b64 s[18:19], vcc, s[0:1]
	v_accvgpr_write_b32 a16, v12
                                        ; implicit-def: $vgpr34_vgpr35
	s_and_saveexec_b64 s[0:1], s[18:19]
	s_cbranch_execz .LBB2_16
; %bb.15:
	flat_load_dwordx2 a[16:17], v[26:27] offset:56
	flat_load_dwordx2 v[34:35], v[26:27] offset:104
.LBB2_16:
	s_or_b64 exec, exec, s[0:1]
	v_cmp_gt_i32_e64 s[0:1], s2, v0
	v_mov_b64_e32 v[38:39], v[12:13]
                                        ; implicit-def: $vgpr48_vgpr49
	s_and_saveexec_b64 s[2:3], s[0:1]
	s_cbranch_execz .LBB2_18
; %bb.17:
	flat_load_dwordx2 v[38:39], v[20:21] offset:56
	s_waitcnt vmcnt(0) lgkmcnt(0)
	flat_load_dwordx2 v[48:49], v[38:39] sc0 sc1
	s_waitcnt vmcnt(0)
	flat_load_dwordx4 v[12:15], v[20:21] offset:96
.LBB2_18:
	s_or_b64 exec, exec, s[2:3]
	v_cmp_ne_u64_e32 vcc, 0, v[58:59]
	v_mov_b64_e32 v[50:51], 0
	s_and_saveexec_b64 s[20:21], vcc
	s_cbranch_execz .LBB2_186
; %bb.19:
	v_ashrrev_i32_e32 v3, 31, v2
	v_lshrrev_b32_e32 v3, 29, v3
	v_add_u32_e32 v2, v2, v3
	s_ashr_i32 s17, s16, 31
	v_ashrrev_i32_e32 v62, 7, v2
	v_lshl_add_u64 v[2:3], v[8:9], 0, v[56:57]
	s_lshl_b64 s[2:3], s[16:17], 2
	v_lshl_add_u64 v[40:41], v[2:3], 0, v[24:25]
	v_lshl_add_u64 v[2:3], v[18:19], 0, s[2:3]
	v_lshl_add_u64 v[2:3], v[2:3], 0, -4
	v_accvgpr_write_b32 a19, v3
	v_accvgpr_write_b32 a18, v2
	v_accvgpr_write_b32 a4, v17
	v_cmp_ne_u32_sdwa s[26:27], v17, v16 src0_sel:WORD_0 src1_sel:DWORD
	v_and_b32_e32 v2, 63, v31
	v_ashrrev_i32_e32 v17, 31, v16
	v_cmp_eq_u32_e64 s[8:9], 0, v2
	v_lshrrev_b32_e32 v2, 26, v17
	v_add_u32_e32 v2, v16, v2
	v_ashrrev_i32_e32 v2, 6, v2
	v_ashrrev_i32_e32 v3, 31, v2
	v_accvgpr_write_b32 a21, v3
	v_accvgpr_read_b32 v4, a6
	v_accvgpr_write_b32 a20, v2
	v_lshlrev_b64 v[2:3], 3, v[0:1]
	v_accvgpr_read_b32 v6, a8
	v_accvgpr_read_b32 v7, a9
	v_lshl_add_u64 v[8:9], v[6:7], 0, v[2:3]
	v_accvgpr_write_b32 a23, v9
	v_accvgpr_write_b32 a22, v8
	s_waitcnt vmcnt(0) lgkmcnt(0)
	v_accvgpr_read_b32 v8, a16
	v_accvgpr_read_b32 v5, a7
	;; [unrolled: 1-line block ×3, first 2 shown]
	v_mov_b32_e32 v55, 0
	v_cmp_ne_u64_e64 s[10:11], 0, v[8:9]
	v_lshl_add_u64 v[8:9], v[4:5], 0, v[2:3]
	v_lshl_add_u64 v[2:3], v[60:61], 3, v[2:3]
	;; [unrolled: 1-line block ×3, first 2 shown]
	v_lshlrev_b32_e32 v2, 3, v22
	v_mov_b32_e32 v3, v55
	v_and_b32_e32 v2, 0x1fffff0, v2
	v_accvgpr_write_b32 a29, v3
	v_accvgpr_write_b32 a28, v2
	v_lshlrev_b64 v[2:3], 3, v[40:41]
	v_accvgpr_write_b32 a31, v3
	v_and_b32_e32 v54, 7, v4
	v_accvgpr_write_b32 a30, v2
	v_lshl_add_u64 v[2:3], v[0:1], 4, v[32:33]
	v_accvgpr_write_b32 a12, v26
	v_accvgpr_write_b32 a10, v20
	s_mov_b32 s22, 0
	s_cmp_gt_i32 s16, 2
	v_accvgpr_write_b32 a25, v9
	v_cmp_eq_u64_e32 vcc, 0, v[54:55]
	v_accvgpr_write_b32 a33, v3
	v_mov_b64_e32 v[46:47], 0
	v_accvgpr_write_b32 a13, v27
	v_accvgpr_write_b32 a11, v21
	v_and_b32_e32 v20, 0x3ffffe, v22
	s_mov_b32 s23, 1
	v_mov_b32_e32 v21, v55
	s_mov_b64 s[24:25], 0
	v_cmp_ne_u64_e64 s[2:3], 0, v[38:39]
	v_cmp_ne_u64_e64 s[4:5], 0, v[12:13]
	v_cmp_ne_u32_e64 s[6:7], 64, v16
	s_cselect_b64 s[28:29], -1, 0
	v_accvgpr_write_b32 a24, v8
	v_cndmask_b32_e64 v30, 0, 1, vcc
	v_lshlrev_b64 v[24:25], 3, v[16:17]
	v_accvgpr_write_b32 a32, v2
	v_lshlrev_b64 v[22:23], 4, v[16:17]
	s_movk_i32 s17, 0x2710
	s_mov_b64 s[30:31], 0x7ffffff8
	v_mov_b32_e32 v36, 0
	v_mov_b64_e32 v[50:51], v[46:47]
	s_branch .LBB2_21
.LBB2_20:                               ;   in Loop: Header=BB2_21 Depth=1
	s_or_b64 exec, exec, s[12:13]
	v_lshl_add_u64 v[46:47], v[46:47], 0, v[20:21]
	v_accvgpr_read_b32 v2, a28
	v_cmp_ge_u64_e32 vcc, v[46:47], v[58:59]
	v_accvgpr_read_b32 v3, a29
	v_lshl_add_u64 v[28:29], v[28:29], 0, 1
	s_or_b64 s[24:25], vcc, s[24:25]
	v_lshl_add_u64 v[56:57], v[56:57], 0, v[2:3]
	s_andn2_b64 exec, exec, s[24:25]
	s_cbranch_execz .LBB2_185
.LBB2_21:                               ; =>This Loop Header: Depth=1
                                        ;     Child Loop BB2_28 Depth 2
                                        ;     Child Loop BB2_45 Depth 2
	;; [unrolled: 1-line block ×5, first 2 shown]
                                        ;       Child Loop BB2_81 Depth 3
                                        ;       Child Loop BB2_97 Depth 3
                                        ;       Child Loop BB2_112 Depth 3
                                        ;         Child Loop BB2_116 Depth 4
                                        ;       Child Loop BB2_130 Depth 3
                                        ;       Child Loop BB2_74 Depth 3
                                        ;     Child Loop BB2_147 Depth 2
                                        ;       Child Loop BB2_151 Depth 3
                                        ;     Child Loop BB2_172 Depth 2
	v_accvgpr_read_b32 v2, a18
	v_accvgpr_read_b32 v3, a19
	s_waitcnt vmcnt(0) lgkmcnt(0)
	flat_load_dword v7, v[2:3]
	v_sub_co_u32_e32 v2, vcc, v58, v46
	v_accvgpr_write_b32 a5, v30
	s_nop 0
	v_subb_co_u32_e32 v3, vcc, v59, v47, vcc
	v_cmp_lt_u64_e32 vcc, v[20:21], v[2:3]
	s_nop 1
	v_cndmask_b32_e32 v30, v2, v20, vcc
	s_and_saveexec_b64 s[12:13], s[2:3]
	s_cbranch_execz .LBB2_37
; %bb.22:                               ;   in Loop: Header=BB2_21 Depth=1
	v_lshl_add_u64 v[2:3], v[14:15], 0, 1
	v_lshl_add_u64 v[4:5], v[48:49], 0, 8
	v_cmp_lt_u64_e32 vcc, v[4:5], v[2:3]
	s_and_saveexec_b64 s[14:15], vcc
	s_cbranch_execz .LBB2_34
; %bb.23:                               ;   in Loop: Header=BB2_21 Depth=1
	s_sleep 1
	flat_load_dwordx2 v[48:49], v[38:39] sc1
	v_cmp_eq_u32_e32 vcc, 0, v36
	s_and_saveexec_b64 s[34:35], vcc
	s_cbranch_execz .LBB2_33
; %bb.24:                               ;   in Loop: Header=BB2_21 Depth=1
	v_cndmask_b32_e64 v4, 0, 1, vcc
	s_mov_b64 s[36:37], 0
                                        ; implicit-def: $sgpr38_sgpr39
	s_branch .LBB2_28
.LBB2_25:                               ;   in Loop: Header=BB2_28 Depth=2
	s_or_b64 exec, exec, s[46:47]
	s_orn2_b64 s[44:45], s[44:45], exec
.LBB2_26:                               ;   in Loop: Header=BB2_28 Depth=2
	s_or_b64 exec, exec, s[42:43]
	s_xor_b64 vcc, s[44:45], -1
	s_andn2_b64 s[38:39], s[38:39], exec
	s_and_b64 vcc, vcc, exec
	s_or_b64 s[38:39], s[38:39], vcc
.LBB2_27:                               ;   in Loop: Header=BB2_28 Depth=2
	s_or_b64 exec, exec, s[40:41]
	s_and_b64 vcc, exec, s[38:39]
	s_or_b64 s[36:37], vcc, s[36:37]
	s_andn2_b64 exec, exec, s[36:37]
	s_cbranch_execz .LBB2_32
.LBB2_28:                               ;   Parent Loop BB2_21 Depth=1
                                        ; =>  This Inner Loop Header: Depth=2
	s_waitcnt vmcnt(0) lgkmcnt(0)
	v_lshl_add_u64 v[8:9], v[48:49], 0, 8
	v_cmp_lt_u64_e32 vcc, v[8:9], v[2:3]
	v_mov_b32_e32 v36, 0
	s_or_b64 s[38:39], s[38:39], exec
	s_and_saveexec_b64 s[40:41], vcc
	s_cbranch_execz .LBB2_27
; %bb.29:                               ;   in Loop: Header=BB2_28 Depth=2
	s_sleep 1
	flat_load_dwordx2 v[48:49], v[38:39] sc1
	v_add_u32_e32 v4, 1, v4
	v_cmp_eq_u32_e32 vcc, s17, v4
	s_mov_b64 s[44:45], -1
	v_mov_b32_e32 v36, 0
	s_and_saveexec_b64 s[42:43], vcc
	s_cbranch_execz .LBB2_26
; %bb.30:                               ;   in Loop: Header=BB2_28 Depth=2
	s_trap 2
	ds_read_b64 v[4:5], v0
	v_mov_b32_e32 v36, 0
	s_waitcnt vmcnt(0) lgkmcnt(0)
	flat_load_dword v5, v[4:5] sc0 sc1
	s_waitcnt vmcnt(0) lgkmcnt(0)
	buffer_inv sc0 sc1
	v_mov_b32_e32 v4, 0
	v_cmp_ne_u32_e32 vcc, 0, v5
	s_and_saveexec_b64 s[46:47], vcc
	s_cbranch_execz .LBB2_25
; %bb.31:                               ;   in Loop: Header=BB2_28 Depth=2
	v_mov_b32_e32 v36, 1
	s_xor_b64 s[44:45], exec, -1
	ds_write_b32 v0, v5
	s_trap 2
	s_branch .LBB2_25
.LBB2_32:                               ;   in Loop: Header=BB2_21 Depth=1
	s_or_b64 exec, exec, s[36:37]
.LBB2_33:                               ;   in Loop: Header=BB2_21 Depth=1
	s_or_b64 exec, exec, s[34:35]
.LBB2_34:                               ;   in Loop: Header=BB2_21 Depth=1
	s_or_b64 exec, exec, s[14:15]
	s_and_saveexec_b64 s[14:15], s[4:5]
	s_cbranch_execz .LBB2_36
; %bb.35:                               ;   in Loop: Header=BB2_21 Depth=1
	v_and_b32_e32 v54, 0x7ffffff8, v14
	v_cmp_eq_u64_e32 vcc, s[30:31], v[54:55]
	v_and_b32_e32 v6, 7, v14
	s_nop 0
	v_cndmask_b32_e32 v4, v30, v62, vcc
	v_lshlrev_b32_e32 v4, 4, v4
	v_ashrrev_i32_e32 v5, 31, v4
	v_mad_u64_u32 v[8:9], vcc, v6, 24, v[12:13]
	flat_store_dwordx2 v[8:9], v[4:5] offset:8 sc0 sc1
	s_waitcnt vmcnt(0)
.LBB2_36:                               ;   in Loop: Header=BB2_21 Depth=1
	s_or_b64 exec, exec, s[14:15]
	v_mov_b64_e32 v[14:15], v[2:3]
.LBB2_37:                               ;   in Loop: Header=BB2_21 Depth=1
	s_or_b64 exec, exec, s[12:13]
	s_and_saveexec_b64 s[12:13], s[6:7]
	s_cbranch_execz .LBB2_56
; %bb.38:                               ;   in Loop: Header=BB2_21 Depth=1
	s_and_saveexec_b64 s[14:15], s[26:27]
	s_xor_b64 s[14:15], exec, s[14:15]
	s_cbranch_execz .LBB2_53
; %bb.39:                               ;   in Loop: Header=BB2_21 Depth=1
	s_and_saveexec_b64 s[34:35], s[8:9]
	s_cbranch_execz .LBB2_52
; %bb.40:                               ;   in Loop: Header=BB2_21 Depth=1
	s_mov_b64 s[38:39], exec
	v_mbcnt_lo_u32_b32 v2, s38, 0
	v_mbcnt_hi_u32_b32 v2, s39, v2
	v_cmp_eq_u32_e32 vcc, 0, v2
	s_waitcnt lgkmcnt(0)
	s_and_saveexec_b64 s[36:37], vcc
	s_cbranch_execz .LBB2_42
; %bb.41:                               ;   in Loop: Header=BB2_21 Depth=1
	s_bcnt1_i32_b64 vcc_lo, s[38:39]
	v_mov_b32_e32 v54, vcc_lo
	ds_add_u64 v0, v[54:55]
	s_trap 2
.LBB2_42:                               ;   in Loop: Header=BB2_21 Depth=1
	s_or_b64 exec, exec, s[36:37]
	s_trap 2
	ds_read_b64 v[2:3], v0
	v_accvgpr_read_b32 v4, a20
	v_accvgpr_read_b32 v5, a21
	v_lshl_add_u64 v[50:51], v[50:51], 0, v[4:5]
	s_waitcnt lgkmcnt(0)
	v_cmp_lt_u64_e32 vcc, v[2:3], v[50:51]
	s_and_saveexec_b64 s[36:37], vcc
	s_cbranch_execz .LBB2_51
; %bb.43:                               ;   in Loop: Header=BB2_21 Depth=1
	s_mov_b32 s48, 0
	s_mov_b64 s[38:39], 0
                                        ; implicit-def: $sgpr40_sgpr41
                                        ; implicit-def: $sgpr42_sgpr43
	s_branch .LBB2_45
.LBB2_44:                               ;   in Loop: Header=BB2_45 Depth=2
	s_or_b64 exec, exec, s[46:47]
	s_and_b64 vcc, exec, vcc
	s_or_b64 s[38:39], vcc, s[38:39]
	s_andn2_b64 vcc, s[40:41], exec
	s_and_b64 s[40:41], s[42:43], exec
	s_or_b64 s[40:41], vcc, s[40:41]
	s_andn2_b64 exec, exec, s[38:39]
	s_cbranch_execz .LBB2_49
.LBB2_45:                               ;   Parent Loop BB2_21 Depth=1
                                        ; =>  This Inner Loop Header: Depth=2
	s_add_i32 s48, s48, 1
	s_cmpk_lg_i32 s48, 0x2710
	s_cselect_b64 s[44:45], -1, 0
	s_and_b64 vcc, exec, s[44:45]
                                        ; implicit-def: $sgpr46_sgpr47
	s_cbranch_vccnz .LBB2_47
; %bb.46:                               ;   in Loop: Header=BB2_45 Depth=2
	s_trap 2
	ds_read_b64 v[2:3], v0
	s_andn2_b64 s[44:45], s[44:45], exec
	s_mov_b32 s48, 0
	s_mov_b64 s[46:47], -1
	s_waitcnt vmcnt(0) lgkmcnt(0)
	flat_load_dword v2, v[2:3] sc0 sc1
	s_waitcnt vmcnt(0) lgkmcnt(0)
	buffer_inv sc0 sc1
	v_cmp_eq_u32_e32 vcc, 0, v2
	s_and_b64 vcc, vcc, exec
	s_or_b64 s[44:45], s[44:45], vcc
.LBB2_47:                               ;   in Loop: Header=BB2_45 Depth=2
	s_andn2_b64 s[42:43], s[42:43], exec
	s_and_b64 s[46:47], s[46:47], exec
	s_mov_b64 vcc, -1
	s_or_b64 s[42:43], s[42:43], s[46:47]
	s_and_saveexec_b64 s[46:47], s[44:45]
	s_cbranch_execz .LBB2_44
; %bb.48:                               ;   in Loop: Header=BB2_45 Depth=2
	s_sleep 1
	s_trap 2
	ds_read_b64 v[2:3], v0
	s_andn2_b64 s[42:43], s[42:43], exec
	s_waitcnt lgkmcnt(0)
	v_cmp_ge_u64_e32 vcc, v[2:3], v[50:51]
	s_orn2_b64 vcc, vcc, exec
	s_branch .LBB2_44
.LBB2_49:                               ;   in Loop: Header=BB2_21 Depth=1
	s_or_b64 exec, exec, s[38:39]
	s_and_saveexec_b64 vcc, s[40:41]
	s_xor_b64 vcc, exec, vcc
	s_cbranch_execz .LBB2_51
; %bb.50:                               ;   in Loop: Header=BB2_21 Depth=1
	v_mov_b32_e32 v2, 1
	ds_write_b32 v0, v2
	s_trap 2
.LBB2_51:                               ;   in Loop: Header=BB2_21 Depth=1
	s_or_b64 exec, exec, s[36:37]
	;;#ASMSTART
	s_wakeup
	;;#ASMEND
.LBB2_52:                               ;   in Loop: Header=BB2_21 Depth=1
	s_or_b64 exec, exec, s[34:35]
.LBB2_53:                               ;   in Loop: Header=BB2_21 Depth=1
	s_andn2_saveexec_b64 s[14:15], s[14:15]
	s_cbranch_execz .LBB2_55
; %bb.54:                               ;   in Loop: Header=BB2_21 Depth=1
	s_waitcnt lgkmcnt(0)
	s_barrier
.LBB2_55:                               ;   in Loop: Header=BB2_21 Depth=1
	s_or_b64 exec, exec, s[14:15]
.LBB2_56:                               ;   in Loop: Header=BB2_21 Depth=1
	s_or_b64 exec, exec, s[12:13]
	v_accvgpr_write_b32 a6, v20
	v_sub_u32_e32 v26, v30, v0
	v_accvgpr_write_b32 a7, v21
	v_cmp_lt_i32_e64 s[12:13], 0, v26
	v_and_b32_e32 v9, 7, v10
	v_mov_b32_e32 v6, v0
	s_and_saveexec_b64 s[14:15], s[12:13]
	s_cbranch_execz .LBB2_60
; %bb.57:                               ;   in Loop: Header=BB2_21 Depth=1
	v_accvgpr_read_b32 v53, a31
	s_waitcnt vmcnt(0) lgkmcnt(0)
	v_ashrrev_i32_e32 v6, 31, v7
	v_accvgpr_read_b32 v52, a30
	v_mad_u64_u32 v[4:5], vcc, v52, v7, v[56:57]
	v_mul_lo_u32 v7, v53, v7
	v_mul_lo_u32 v6, v52, v6
	;; [unrolled: 1-line block ×3, first 2 shown]
	v_add3_u32 v5, v7, v5, v6
	v_accvgpr_read_b32 v6, a32
	v_ashrrev_i32_e32 v21, 31, v20
	v_mov_b32_e32 v2, v55
	v_mov_b32_e32 v3, v10
	v_accvgpr_read_b32 v7, a33
	v_lshl_add_u64 v[2:3], v[2:3], 0, s[22:23]
	v_lshl_add_u64 v[20:21], v[20:21], 4, v[6:7]
	s_mov_b64 s[34:35], 0
	v_mov_b32_e32 v7, v26
	v_mov_b32_e32 v6, v0
.LBB2_58:                               ;   Parent Loop BB2_21 Depth=1
                                        ; =>  This Inner Loop Header: Depth=2
	global_load_dwordx2 v[52:53], v[4:5], off nt
	v_sub_u32_e32 v7, v7, v16
	v_mov_b32_e32 v43, v3
	v_mov_b32_e32 v45, v3
	v_cmp_gt_i32_e32 vcc, 1, v7
	v_add_u32_e32 v6, v6, v16
	v_lshl_add_u64 v[4:5], v[4:5], 0, v[24:25]
	s_or_b64 s[34:35], vcc, s[34:35]
	s_waitcnt vmcnt(0)
	v_mov_b32_e32 v8, v53
	v_or_b32_e32 v42, v52, v2
	v_or_b32_e32 v44, v8, v2
	global_store_dwordx4 v[20:21], v[42:45], off
	v_lshl_add_u64 v[20:21], v[20:21], 0, v[22:23]
	s_andn2_b64 exec, exec, s[34:35]
	s_cbranch_execnz .LBB2_58
; %bb.59:                               ;   in Loop: Header=BB2_21 Depth=1
	s_or_b64 exec, exec, s[34:35]
.LBB2_60:                               ;   in Loop: Header=BB2_21 Depth=1
	s_or_b64 exec, exec, s[14:15]
	v_and_b32_e32 v54, 0x7ffffff8, v10
	v_cmp_eq_u64_e32 vcc, s[30:31], v[54:55]
	v_cmp_gt_i32_e64 s[14:15], v62, v6
	s_and_b64 vcc, vcc, s[14:15]
	s_and_saveexec_b64 s[14:15], vcc
	s_cbranch_execz .LBB2_63
; %bb.61:                               ;   in Loop: Header=BB2_21 Depth=1
	v_mul_lo_u32 v4, v9, v62
	v_ashrrev_i32_e32 v5, 31, v4
	s_waitcnt vmcnt(0) lgkmcnt(0)
	v_ashrrev_i32_e32 v7, 31, v6
	v_lshlrev_b64 v[4:5], 4, v[4:5]
	v_mov_b32_e32 v2, v55
	v_mov_b32_e32 v3, v10
	v_lshl_add_u64 v[4:5], v[6:7], 4, v[4:5]
	v_lshl_add_u64 v[2:3], v[2:3], 0, s[22:23]
	;; [unrolled: 1-line block ×3, first 2 shown]
	s_mov_b64 s[34:35], 0
.LBB2_62:                               ;   Parent Loop BB2_21 Depth=1
                                        ; =>  This Inner Loop Header: Depth=2
	v_add_u32_e32 v6, v6, v16
	v_mov_b32_e32 v4, v2
	v_mov_b32_e32 v5, v3
	v_cmp_ge_i32_e32 vcc, v6, v62
	global_store_dwordx4 v[20:21], v[2:5], off
	s_or_b64 s[34:35], vcc, s[34:35]
	v_lshl_add_u64 v[20:21], v[20:21], 0, v[22:23]
	s_andn2_b64 exec, exec, s[34:35]
	s_cbranch_execnz .LBB2_62
.LBB2_63:                               ;   in Loop: Header=BB2_21 Depth=1
	s_or_b64 exec, exec, s[14:15]
	v_accvgpr_write_b32 a26, v56
	v_accvgpr_write_b32 a27, v57
	v_lshl_add_u64 v[4:5], v[46:47], 0, v[60:61]
	s_andn2_b64 vcc, exec, s[28:29]
	v_lshl_add_u64 v[56:57], v[10:11], 0, 1
	s_cbranch_vccnz .LBB2_141
; %bb.64:                               ;   in Loop: Header=BB2_21 Depth=1
	v_accvgpr_read_b32 v2, a22
	v_accvgpr_write_b32 a0, v60
	v_accvgpr_write_b32 a2, v58
	v_accvgpr_read_b32 v3, a23
	v_accvgpr_write_b32 a35, v5
	v_accvgpr_write_b32 a1, v61
	;; [unrolled: 1-line block ×4, first 2 shown]
	v_lshl_add_u64 v[60:61], v[4:5], 3, v[2:3]
	v_add_u16_e32 v27, 1, v10
	s_mov_b32 s50, 2
	s_branch .LBB2_66
.LBB2_65:                               ;   in Loop: Header=BB2_66 Depth=2
	s_or_b64 exec, exec, s[14:15]
	s_add_i32 s50, s50, 1
	v_lshl_add_u64 v[28:29], v[28:29], 0, 1
	v_lshl_add_u64 v[56:57], v[56:57], 0, 1
	s_cmp_eq_u32 s50, s16
	v_add_u16_e32 v27, 1, v27
	s_cbranch_scc1 .LBB2_142
.LBB2_66:                               ;   Parent Loop BB2_21 Depth=1
                                        ; =>  This Loop Header: Depth=2
                                        ;       Child Loop BB2_81 Depth 3
                                        ;       Child Loop BB2_97 Depth 3
	;; [unrolled: 1-line block ×3, first 2 shown]
                                        ;         Child Loop BB2_116 Depth 4
                                        ;       Child Loop BB2_130 Depth 3
                                        ;       Child Loop BB2_74 Depth 3
	s_sub_i32 s14, s16, s50
	s_ashr_i32 s15, s14, 31
	s_lshl_b64 s[14:15], s[14:15], 2
	v_lshl_add_u64 v[2:3], v[18:19], 0, s[14:15]
	s_waitcnt vmcnt(0) lgkmcnt(0)
	flat_load_dword v4, v[2:3]
	s_and_saveexec_b64 s[14:15], s[2:3]
	s_cbranch_execnz .LBB2_75
; %bb.67:                               ;   in Loop: Header=BB2_66 Depth=2
	s_or_b64 exec, exec, s[14:15]
	s_and_saveexec_b64 s[14:15], s[6:7]
	s_cbranch_execnz .LBB2_90
.LBB2_68:                               ;   in Loop: Header=BB2_66 Depth=2
	s_or_b64 exec, exec, s[14:15]
	v_mov_b32_e32 v10, v0
	s_and_saveexec_b64 s[34:35], s[12:13]
	s_cbranch_execnz .LBB2_108
.LBB2_69:                               ;   in Loop: Header=BB2_66 Depth=2
	s_or_b64 exec, exec, s[34:35]
	s_and_saveexec_b64 s[14:15], s[6:7]
	s_cbranch_execnz .LBB2_123
.LBB2_70:                               ;   in Loop: Header=BB2_66 Depth=2
	s_or_b64 exec, exec, s[14:15]
	s_and_saveexec_b64 s[14:15], s[10:11]
	s_cbranch_execz .LBB2_72
.LBB2_71:                               ;   in Loop: Header=BB2_66 Depth=2
	v_accvgpr_read_b32 v2, a16
	v_lshl_add_u64 v[34:35], v[34:35], 0, 1
	v_accvgpr_read_b32 v3, a17
	flat_store_dwordx2 v[2:3], v[34:35] sc0 sc1
.LBB2_72:                               ;   in Loop: Header=BB2_66 Depth=2
	s_or_b64 exec, exec, s[14:15]
	v_and_b32_e32 v54, 0x7ffffff8, v56
	v_cmp_eq_u64_e32 vcc, s[30:31], v[54:55]
	v_cmp_gt_i32_e64 s[14:15], v62, v10
	s_and_b64 vcc, vcc, s[14:15]
	s_and_saveexec_b64 s[14:15], vcc
	s_cbranch_execz .LBB2_65
; %bb.73:                               ;   in Loop: Header=BB2_66 Depth=2
	v_and_b32_e32 v2, 7, v27
	v_mul_lo_u32 v2, v62, v2
	v_ashrrev_i32_e32 v3, 31, v2
	s_waitcnt vmcnt(0) lgkmcnt(0)
	v_lshlrev_b64 v[4:5], 4, v[2:3]
	v_ashrrev_i32_e32 v11, 31, v10
	v_mov_b32_e32 v2, v55
	v_mov_b32_e32 v3, v56
	v_lshl_add_u64 v[4:5], v[10:11], 4, v[4:5]
	v_lshl_add_u64 v[2:3], v[2:3], 0, s[22:23]
	;; [unrolled: 1-line block ×3, first 2 shown]
	s_mov_b64 s[34:35], 0
.LBB2_74:                               ;   Parent Loop BB2_21 Depth=1
                                        ;     Parent Loop BB2_66 Depth=2
                                        ; =>    This Inner Loop Header: Depth=3
	v_add_u32_e32 v10, v10, v16
	v_mov_b32_e32 v4, v2
	v_mov_b32_e32 v5, v3
	v_cmp_ge_i32_e32 vcc, v10, v62
	global_store_dwordx4 v[6:7], v[2:5], off
	s_or_b64 s[34:35], vcc, s[34:35]
	v_lshl_add_u64 v[6:7], v[6:7], 0, v[22:23]
	s_andn2_b64 exec, exec, s[34:35]
	s_cbranch_execnz .LBB2_74
	s_branch .LBB2_65
.LBB2_75:                               ;   in Loop: Header=BB2_66 Depth=2
	v_lshl_add_u64 v[2:3], v[14:15], 0, 1
	s_waitcnt vmcnt(0) lgkmcnt(0)
	v_lshl_add_u64 v[6:7], v[48:49], 0, 8
	v_cmp_lt_u64_e32 vcc, v[6:7], v[2:3]
	s_and_saveexec_b64 s[34:35], vcc
	s_cbranch_execz .LBB2_87
; %bb.76:                               ;   in Loop: Header=BB2_66 Depth=2
	s_sleep 1
	flat_load_dwordx2 v[48:49], v[38:39] sc1
	v_cmp_eq_u32_e32 vcc, 0, v36
	s_and_saveexec_b64 s[36:37], vcc
	s_cbranch_execz .LBB2_86
; %bb.77:                               ;   in Loop: Header=BB2_66 Depth=2
	v_cndmask_b32_e64 v5, 0, 1, vcc
	s_mov_b64 s[38:39], 0
                                        ; implicit-def: $sgpr40_sgpr41
	s_branch .LBB2_81
.LBB2_78:                               ;   in Loop: Header=BB2_81 Depth=3
	s_or_b64 exec, exec, s[48:49]
	s_orn2_b64 s[46:47], s[46:47], exec
.LBB2_79:                               ;   in Loop: Header=BB2_81 Depth=3
	s_or_b64 exec, exec, s[44:45]
	s_xor_b64 vcc, s[46:47], -1
	s_andn2_b64 s[40:41], s[40:41], exec
	s_and_b64 vcc, vcc, exec
	s_or_b64 s[40:41], s[40:41], vcc
.LBB2_80:                               ;   in Loop: Header=BB2_81 Depth=3
	s_or_b64 exec, exec, s[42:43]
	s_and_b64 vcc, exec, s[40:41]
	s_or_b64 s[38:39], vcc, s[38:39]
	s_andn2_b64 exec, exec, s[38:39]
	s_cbranch_execz .LBB2_85
.LBB2_81:                               ;   Parent Loop BB2_21 Depth=1
                                        ;     Parent Loop BB2_66 Depth=2
                                        ; =>    This Inner Loop Header: Depth=3
	s_waitcnt vmcnt(0) lgkmcnt(0)
	v_lshl_add_u64 v[6:7], v[48:49], 0, 8
	v_cmp_lt_u64_e32 vcc, v[6:7], v[2:3]
	v_mov_b32_e32 v36, 0
	s_or_b64 s[40:41], s[40:41], exec
	s_and_saveexec_b64 s[42:43], vcc
	s_cbranch_execz .LBB2_80
; %bb.82:                               ;   in Loop: Header=BB2_81 Depth=3
	s_sleep 1
	flat_load_dwordx2 v[48:49], v[38:39] sc1
	v_add_u32_e32 v5, 1, v5
	v_cmp_eq_u32_e32 vcc, s17, v5
	s_mov_b64 s[46:47], -1
	v_mov_b32_e32 v36, 0
	s_and_saveexec_b64 s[44:45], vcc
	s_cbranch_execz .LBB2_79
; %bb.83:                               ;   in Loop: Header=BB2_81 Depth=3
	s_trap 2
	ds_read_b64 v[6:7], v0
	v_mov_b32_e32 v5, 0
	v_mov_b32_e32 v36, 0
	s_waitcnt vmcnt(0) lgkmcnt(0)
	flat_load_dword v6, v[6:7] sc0 sc1
	s_waitcnt vmcnt(0) lgkmcnt(0)
	buffer_inv sc0 sc1
	v_cmp_ne_u32_e32 vcc, 0, v6
	s_and_saveexec_b64 s[48:49], vcc
	s_cbranch_execz .LBB2_78
; %bb.84:                               ;   in Loop: Header=BB2_81 Depth=3
	v_mov_b32_e32 v36, 1
	s_xor_b64 s[46:47], exec, -1
	ds_write_b32 v0, v6
	s_trap 2
	s_branch .LBB2_78
.LBB2_85:                               ;   in Loop: Header=BB2_66 Depth=2
	s_or_b64 exec, exec, s[38:39]
.LBB2_86:                               ;   in Loop: Header=BB2_66 Depth=2
	s_or_b64 exec, exec, s[36:37]
.LBB2_87:                               ;   in Loop: Header=BB2_66 Depth=2
	s_or_b64 exec, exec, s[34:35]
	s_and_saveexec_b64 s[34:35], s[4:5]
	s_cbranch_execz .LBB2_89
; %bb.88:                               ;   in Loop: Header=BB2_66 Depth=2
	v_and_b32_e32 v54, 0x7ffffff8, v14
	v_cmp_eq_u64_e32 vcc, s[30:31], v[54:55]
	s_nop 1
	v_cndmask_b32_e32 v5, v30, v62, vcc
	v_lshlrev_b32_e32 v6, 4, v5
	v_and_b32_e32 v5, 7, v14
	v_ashrrev_i32_e32 v7, 31, v6
	v_mad_u64_u32 v[8:9], vcc, v5, 24, v[12:13]
	flat_store_dwordx2 v[8:9], v[6:7] offset:8 sc0 sc1
	s_waitcnt vmcnt(0)
.LBB2_89:                               ;   in Loop: Header=BB2_66 Depth=2
	s_or_b64 exec, exec, s[34:35]
	v_mov_b64_e32 v[14:15], v[2:3]
	s_or_b64 exec, exec, s[14:15]
	s_and_saveexec_b64 s[14:15], s[6:7]
	s_cbranch_execz .LBB2_68
.LBB2_90:                               ;   in Loop: Header=BB2_66 Depth=2
	s_and_saveexec_b64 vcc, s[26:27]
	s_xor_b64 s[34:35], exec, vcc
	s_cbranch_execz .LBB2_105
; %bb.91:                               ;   in Loop: Header=BB2_66 Depth=2
	s_and_saveexec_b64 s[36:37], s[8:9]
	s_cbranch_execz .LBB2_104
; %bb.92:                               ;   in Loop: Header=BB2_66 Depth=2
	s_mov_b64 s[40:41], exec
	v_mbcnt_lo_u32_b32 v2, s40, 0
	v_mbcnt_hi_u32_b32 v2, s41, v2
	v_cmp_eq_u32_e32 vcc, 0, v2
	s_waitcnt lgkmcnt(0)
	s_and_saveexec_b64 s[38:39], vcc
	s_cbranch_execz .LBB2_94
; %bb.93:                               ;   in Loop: Header=BB2_66 Depth=2
	s_bcnt1_i32_b64 vcc_lo, s[40:41]
	v_mov_b32_e32 v54, vcc_lo
	ds_add_u64 v0, v[54:55]
	s_trap 2
.LBB2_94:                               ;   in Loop: Header=BB2_66 Depth=2
	s_or_b64 exec, exec, s[38:39]
	s_trap 2
	ds_read_b64 v[2:3], v0
	s_waitcnt vmcnt(0)
	v_accvgpr_read_b32 v6, a20
	v_accvgpr_read_b32 v7, a21
	v_lshl_add_u64 v[50:51], v[50:51], 0, v[6:7]
	s_waitcnt lgkmcnt(0)
	v_cmp_lt_u64_e32 vcc, v[2:3], v[50:51]
	s_and_saveexec_b64 s[38:39], vcc
	s_cbranch_execz .LBB2_103
; %bb.95:                               ;   in Loop: Header=BB2_66 Depth=2
	s_mov_b32 s51, 0
	s_mov_b64 s[40:41], 0
                                        ; implicit-def: $sgpr42_sgpr43
                                        ; implicit-def: $sgpr44_sgpr45
	s_branch .LBB2_97
.LBB2_96:                               ;   in Loop: Header=BB2_97 Depth=3
	s_or_b64 exec, exec, s[48:49]
	s_and_b64 vcc, exec, vcc
	s_or_b64 s[40:41], vcc, s[40:41]
	s_andn2_b64 vcc, s[42:43], exec
	s_and_b64 s[42:43], s[44:45], exec
	s_or_b64 s[42:43], vcc, s[42:43]
	s_andn2_b64 exec, exec, s[40:41]
	s_cbranch_execz .LBB2_101
.LBB2_97:                               ;   Parent Loop BB2_21 Depth=1
                                        ;     Parent Loop BB2_66 Depth=2
                                        ; =>    This Inner Loop Header: Depth=3
	s_add_i32 s51, s51, 1
	s_cmpk_lg_i32 s51, 0x2710
	s_cselect_b64 s[46:47], -1, 0
	s_and_b64 vcc, exec, s[46:47]
                                        ; implicit-def: $sgpr48_sgpr49
	s_cbranch_vccnz .LBB2_99
; %bb.98:                               ;   in Loop: Header=BB2_97 Depth=3
	s_trap 2
	ds_read_b64 v[2:3], v0
	s_andn2_b64 s[46:47], s[46:47], exec
	s_mov_b32 s51, 0
	s_mov_b64 s[48:49], -1
	s_waitcnt lgkmcnt(0)
	flat_load_dword v2, v[2:3] sc0 sc1
	s_waitcnt vmcnt(0) lgkmcnt(0)
	buffer_inv sc0 sc1
	v_cmp_eq_u32_e32 vcc, 0, v2
	s_and_b64 vcc, vcc, exec
	s_or_b64 s[46:47], s[46:47], vcc
.LBB2_99:                               ;   in Loop: Header=BB2_97 Depth=3
	s_andn2_b64 s[44:45], s[44:45], exec
	s_and_b64 s[48:49], s[48:49], exec
	s_mov_b64 vcc, -1
	s_or_b64 s[44:45], s[44:45], s[48:49]
	s_and_saveexec_b64 s[48:49], s[46:47]
	s_cbranch_execz .LBB2_96
; %bb.100:                              ;   in Loop: Header=BB2_97 Depth=3
	s_sleep 1
	s_trap 2
	ds_read_b64 v[2:3], v0
	s_andn2_b64 s[44:45], s[44:45], exec
	s_waitcnt lgkmcnt(0)
	v_cmp_ge_u64_e32 vcc, v[2:3], v[50:51]
	s_orn2_b64 vcc, vcc, exec
	s_branch .LBB2_96
.LBB2_101:                              ;   in Loop: Header=BB2_66 Depth=2
	s_or_b64 exec, exec, s[40:41]
	s_and_saveexec_b64 vcc, s[42:43]
	s_xor_b64 vcc, exec, vcc
	s_cbranch_execz .LBB2_103
; %bb.102:                              ;   in Loop: Header=BB2_66 Depth=2
	v_mov_b32_e32 v2, 1
	ds_write_b32 v0, v2
	s_trap 2
.LBB2_103:                              ;   in Loop: Header=BB2_66 Depth=2
	s_or_b64 exec, exec, s[38:39]
	;;#ASMSTART
	s_wakeup
	;;#ASMEND
.LBB2_104:                              ;   in Loop: Header=BB2_66 Depth=2
	s_or_b64 exec, exec, s[36:37]
.LBB2_105:                              ;   in Loop: Header=BB2_66 Depth=2
	s_andn2_saveexec_b64 vcc, s[34:35]
	s_cbranch_execz .LBB2_107
; %bb.106:                              ;   in Loop: Header=BB2_66 Depth=2
	s_waitcnt lgkmcnt(0)
	s_barrier
.LBB2_107:                              ;   in Loop: Header=BB2_66 Depth=2
	s_or_b64 exec, exec, vcc
	s_or_b64 exec, exec, s[14:15]
	v_mov_b32_e32 v10, v0
	s_and_saveexec_b64 s[34:35], s[12:13]
	s_cbranch_execz .LBB2_69
.LBB2_108:                              ;   in Loop: Header=BB2_66 Depth=2
	s_waitcnt vmcnt(0) lgkmcnt(0)
	v_ashrrev_i32_e32 v2, 31, v4
	v_mul_lo_u32 v5, v41, v4
	v_mul_lo_u32 v6, v40, v2
	v_mad_u64_u32 v[2:3], s[14:15], v40, v4, 0
	v_add3_u32 v3, v3, v6, v5
	v_lshl_add_u64 v[20:21], v[2:3], 3, v[60:61]
	v_and_b32_e32 v2, 7, v28
	v_mul_lo_u32 v2, v2, v62
	v_accvgpr_read_b32 v4, a14
	v_ashrrev_i32_e32 v3, 31, v2
	v_accvgpr_read_b32 v5, a15
	v_lshl_add_u64 v[42:43], v[2:3], 4, v[4:5]
	v_and_b32_e32 v2, 7, v56
	v_mul_lo_u32 v2, v2, v62
	v_ashrrev_i32_e32 v3, 31, v2
	v_lshl_add_u64 v[58:59], v[2:3], 4, v[32:33]
	v_mov_b32_e32 v2, v55
	v_mov_b32_e32 v3, v56
	v_add_u32_e32 v37, 1, v28
	v_lshl_add_u64 v[44:45], v[2:3], 0, s[22:23]
	s_mov_b64 s[36:37], 0
	v_mov_b32_e32 v9, v36
	v_mov_b32_e32 v54, v26
	;; [unrolled: 1-line block ×3, first 2 shown]
	s_branch .LBB2_112
.LBB2_109:                              ;   in Loop: Header=BB2_112 Depth=3
	s_or_b64 exec, exec, s[42:43]
.LBB2_110:                              ;   in Loop: Header=BB2_112 Depth=3
	s_or_b64 exec, exec, s[40:41]
.LBB2_111:                              ;   in Loop: Header=BB2_112 Depth=3
	s_or_b64 exec, exec, s[38:39]
	s_waitcnt vmcnt(0)
	v_mul_lo_u32 v4, v4, v6
	v_mul_lo_u32 v5, v2, v7
	v_mad_u64_u32 v[2:3], s[14:15], v2, v6, 0
	v_sub_u32_e32 v54, v54, v16
	v_add3_u32 v3, v3, v5, v4
	v_cmp_gt_i32_e32 vcc, 1, v54
	v_lshl_add_u64 v[20:21], v[16:17], 3, v[20:21]
	v_lshl_add_u64 v[6:7], v[10:11], 4, v[58:59]
	v_or_b32_e32 v2, v44, v2
	v_or_b32_e32 v4, v44, v3
	v_mov_b32_e32 v3, v45
	v_mov_b32_e32 v5, v45
	s_or_b64 s[36:37], vcc, s[36:37]
	v_add_u32_e32 v10, v10, v16
	global_store_dwordx4 v[6:7], v[2:5], off
	s_andn2_b64 exec, exec, s[36:37]
	s_cbranch_execz .LBB2_122
.LBB2_112:                              ;   Parent Loop BB2_21 Depth=1
                                        ;     Parent Loop BB2_66 Depth=2
                                        ; =>    This Loop Header: Depth=3
                                        ;         Child Loop BB2_116 Depth 4
	v_ashrrev_i32_e32 v11, 31, v10
	v_lshl_add_u64 v[52:53], v[10:11], 4, v[42:43]
	global_load_dwordx2 v[6:7], v[20:21], off nt
	global_load_dwordx4 v[2:5], v[52:53], off nt
	v_cmp_eq_u32_e32 vcc, 0, v9
	s_and_saveexec_b64 s[38:39], vcc
	s_cbranch_execz .LBB2_111
; %bb.113:                              ;   in Loop: Header=BB2_112 Depth=3
	s_waitcnt vmcnt(0)
	v_cmp_ne_u32_e32 vcc, v37, v3
	v_cmp_ne_u32_e64 s[14:15], v37, v5
	s_or_b64 s[14:15], vcc, s[14:15]
	v_mov_b32_e32 v9, 0
	s_and_saveexec_b64 s[40:41], s[14:15]
	s_cbranch_execz .LBB2_110
; %bb.114:                              ;   in Loop: Header=BB2_112 Depth=3
	s_mov_b32 s46, 1
	s_mov_b64 s[42:43], 0
	v_mov_b32_e32 v9, 0
	s_branch .LBB2_116
.LBB2_115:                              ;   in Loop: Header=BB2_116 Depth=4
	s_or_b64 exec, exec, s[44:45]
	s_and_b64 s[14:15], exec, s[14:15]
	s_or_b64 s[42:43], s[14:15], s[42:43]
	s_andn2_b64 exec, exec, s[42:43]
	s_cbranch_execz .LBB2_109
.LBB2_116:                              ;   Parent Loop BB2_21 Depth=1
                                        ;     Parent Loop BB2_66 Depth=2
                                        ;       Parent Loop BB2_112 Depth=3
                                        ; =>      This Inner Loop Header: Depth=4
	global_load_dwordx4 v[2:5], v[52:53], off nt
	s_add_i32 s46, s46, 1
	s_cmpk_lg_i32 s46, 0x2710
	s_cbranch_scc1 .LBB2_120
; %bb.117:                              ;   in Loop: Header=BB2_116 Depth=4
	s_trap 2
	ds_read_b64 v[8:9], v0
	s_waitcnt vmcnt(0) lgkmcnt(0)
	flat_load_dword v8, v[8:9] sc0 sc1
	s_waitcnt vmcnt(0) lgkmcnt(0)
	buffer_inv sc0 sc1
	v_mov_b32_e32 v9, v36
	v_cmp_ne_u32_e32 vcc, 0, v8
	s_and_saveexec_b64 s[14:15], vcc
	s_cbranch_execz .LBB2_119
; %bb.118:                              ;   in Loop: Header=BB2_116 Depth=4
	v_or_b32_e32 v9, 1, v36
	v_mov_b32_e32 v36, 1
	ds_write_b32 v0, v8
	s_trap 2
.LBB2_119:                              ;   in Loop: Header=BB2_116 Depth=4
	s_or_b64 exec, exec, s[14:15]
	v_mov_b32_e32 v8, v36
	s_mov_b32 s46, 0
	v_mov_b32_e32 v36, v9
	v_cmp_eq_u32_e32 vcc, 0, v8
	s_mov_b64 s[14:15], -1
	s_and_saveexec_b64 s[44:45], vcc
	s_cbranch_execz .LBB2_115
	s_branch .LBB2_121
.LBB2_120:                              ;   in Loop: Header=BB2_116 Depth=4
	v_mov_b32_e32 v8, 0
	v_cmp_eq_u32_e32 vcc, 0, v8
	s_mov_b64 s[14:15], -1
	s_and_saveexec_b64 s[44:45], vcc
	s_cbranch_execz .LBB2_115
.LBB2_121:                              ;   in Loop: Header=BB2_116 Depth=4
	s_waitcnt vmcnt(0)
	v_cmp_eq_u32_e32 vcc, v37, v3
	v_cmp_eq_u32_e64 s[14:15], v37, v5
	s_and_b64 s[14:15], vcc, s[14:15]
	s_orn2_b64 s[14:15], s[14:15], exec
	s_branch .LBB2_115
.LBB2_122:                              ;   in Loop: Header=BB2_66 Depth=2
	s_or_b64 exec, exec, s[36:37]
	s_or_b64 exec, exec, s[34:35]
	s_and_saveexec_b64 s[14:15], s[6:7]
	s_cbranch_execz .LBB2_70
.LBB2_123:                              ;   in Loop: Header=BB2_66 Depth=2
	s_and_saveexec_b64 vcc, s[26:27]
	s_xor_b64 s[34:35], exec, vcc
	s_cbranch_execz .LBB2_138
; %bb.124:                              ;   in Loop: Header=BB2_66 Depth=2
	s_and_saveexec_b64 s[36:37], s[8:9]
	s_cbranch_execz .LBB2_137
; %bb.125:                              ;   in Loop: Header=BB2_66 Depth=2
	s_mov_b64 s[40:41], exec
	v_mbcnt_lo_u32_b32 v2, s40, 0
	v_mbcnt_hi_u32_b32 v2, s41, v2
	v_cmp_eq_u32_e32 vcc, 0, v2
	s_waitcnt lgkmcnt(0)
	s_and_saveexec_b64 s[38:39], vcc
	s_cbranch_execz .LBB2_127
; %bb.126:                              ;   in Loop: Header=BB2_66 Depth=2
	s_bcnt1_i32_b64 vcc_lo, s[40:41]
	v_mov_b32_e32 v54, vcc_lo
	ds_add_u64 v0, v[54:55]
	s_trap 2
.LBB2_127:                              ;   in Loop: Header=BB2_66 Depth=2
	s_or_b64 exec, exec, s[38:39]
	s_trap 2
	ds_read_b64 v[2:3], v0
	s_waitcnt vmcnt(0)
	v_accvgpr_read_b32 v4, a20
	v_accvgpr_read_b32 v5, a21
	v_lshl_add_u64 v[50:51], v[50:51], 0, v[4:5]
	s_waitcnt lgkmcnt(0)
	v_cmp_lt_u64_e32 vcc, v[2:3], v[50:51]
	s_and_saveexec_b64 s[38:39], vcc
	s_cbranch_execz .LBB2_136
; %bb.128:                              ;   in Loop: Header=BB2_66 Depth=2
	s_mov_b32 s51, 0
	s_mov_b64 s[40:41], 0
                                        ; implicit-def: $sgpr42_sgpr43
                                        ; implicit-def: $sgpr44_sgpr45
	s_branch .LBB2_130
.LBB2_129:                              ;   in Loop: Header=BB2_130 Depth=3
	s_or_b64 exec, exec, s[48:49]
	s_and_b64 vcc, exec, vcc
	s_or_b64 s[40:41], vcc, s[40:41]
	s_andn2_b64 vcc, s[42:43], exec
	s_and_b64 s[42:43], s[44:45], exec
	s_or_b64 s[42:43], vcc, s[42:43]
	s_andn2_b64 exec, exec, s[40:41]
	s_cbranch_execz .LBB2_134
.LBB2_130:                              ;   Parent Loop BB2_21 Depth=1
                                        ;     Parent Loop BB2_66 Depth=2
                                        ; =>    This Inner Loop Header: Depth=3
	s_add_i32 s51, s51, 1
	s_cmpk_lg_i32 s51, 0x2710
	s_cselect_b64 s[46:47], -1, 0
	s_and_b64 vcc, exec, s[46:47]
                                        ; implicit-def: $sgpr48_sgpr49
	s_cbranch_vccnz .LBB2_132
; %bb.131:                              ;   in Loop: Header=BB2_130 Depth=3
	s_trap 2
	ds_read_b64 v[2:3], v0
	s_andn2_b64 s[46:47], s[46:47], exec
	s_mov_b32 s51, 0
	s_mov_b64 s[48:49], -1
	s_waitcnt lgkmcnt(0)
	flat_load_dword v2, v[2:3] sc0 sc1
	s_waitcnt vmcnt(0) lgkmcnt(0)
	buffer_inv sc0 sc1
	v_cmp_eq_u32_e32 vcc, 0, v2
	s_and_b64 vcc, vcc, exec
	s_or_b64 s[46:47], s[46:47], vcc
.LBB2_132:                              ;   in Loop: Header=BB2_130 Depth=3
	s_andn2_b64 s[44:45], s[44:45], exec
	s_and_b64 s[48:49], s[48:49], exec
	s_mov_b64 vcc, -1
	s_or_b64 s[44:45], s[44:45], s[48:49]
	s_and_saveexec_b64 s[48:49], s[46:47]
	s_cbranch_execz .LBB2_129
; %bb.133:                              ;   in Loop: Header=BB2_130 Depth=3
	s_sleep 1
	s_trap 2
	ds_read_b64 v[2:3], v0
	s_andn2_b64 s[44:45], s[44:45], exec
	s_waitcnt lgkmcnt(0)
	v_cmp_ge_u64_e32 vcc, v[2:3], v[50:51]
	s_orn2_b64 vcc, vcc, exec
	s_branch .LBB2_129
.LBB2_134:                              ;   in Loop: Header=BB2_66 Depth=2
	s_or_b64 exec, exec, s[40:41]
	s_and_saveexec_b64 vcc, s[42:43]
	s_xor_b64 vcc, exec, vcc
	s_cbranch_execz .LBB2_136
; %bb.135:                              ;   in Loop: Header=BB2_66 Depth=2
	v_mov_b32_e32 v2, 1
	ds_write_b32 v0, v2
	s_trap 2
.LBB2_136:                              ;   in Loop: Header=BB2_66 Depth=2
	s_or_b64 exec, exec, s[38:39]
	;;#ASMSTART
	s_wakeup
	;;#ASMEND
.LBB2_137:                              ;   in Loop: Header=BB2_66 Depth=2
	s_or_b64 exec, exec, s[36:37]
.LBB2_138:                              ;   in Loop: Header=BB2_66 Depth=2
	s_andn2_saveexec_b64 vcc, s[34:35]
	s_cbranch_execz .LBB2_140
; %bb.139:                              ;   in Loop: Header=BB2_66 Depth=2
	s_waitcnt lgkmcnt(0)
	s_barrier
.LBB2_140:                              ;   in Loop: Header=BB2_66 Depth=2
	s_or_b64 exec, exec, vcc
	s_or_b64 exec, exec, s[14:15]
	s_and_saveexec_b64 s[14:15], s[10:11]
	s_cbranch_execnz .LBB2_71
	s_branch .LBB2_72
.LBB2_141:                              ;   in Loop: Header=BB2_21 Depth=1
	v_accvgpr_write_b32 a35, v5
	v_accvgpr_write_b32 a34, v4
	v_mov_b64_e32 v[10:11], v[56:57]
	s_branch .LBB2_143
.LBB2_142:                              ;   in Loop: Header=BB2_21 Depth=1
	v_accvgpr_read_b32 v59, a3
	v_accvgpr_read_b32 v61, a1
	v_mov_b64_e32 v[10:11], v[56:57]
	v_accvgpr_read_b32 v58, a2
	v_accvgpr_read_b32 v60, a0
.LBB2_143:                              ;   in Loop: Header=BB2_21 Depth=1
	v_accvgpr_read_b32 v2, a34
	v_accvgpr_read_b32 v30, a5
	;; [unrolled: 1-line block ×3, first 2 shown]
; %bb.144:                              ;   in Loop: Header=BB2_21 Depth=1
	s_and_saveexec_b64 s[14:15], s[12:13]
	s_cbranch_execz .LBB2_164
; %bb.145:                              ;   in Loop: Header=BB2_21 Depth=1
	flat_load_dword v6, v[18:19]
	s_waitcnt vmcnt(0) lgkmcnt(0)
	v_accvgpr_read_b32 v4, a8
	v_accvgpr_read_b32 v8, a24
	v_lshlrev_b64 v[2:3], 3, v[2:3]
	v_and_b32_e32 v7, 7, v28
	v_accvgpr_read_b32 v5, a9
	v_accvgpr_read_b32 v9, a25
	v_lshl_add_u64 v[4:5], v[4:5], 0, v[2:3]
	v_lshl_add_u64 v[20:21], v[8:9], 0, v[2:3]
	v_mul_lo_u32 v2, v7, v62
	v_accvgpr_read_b32 v8, a14
	v_ashrrev_i32_e32 v3, 31, v2
	v_accvgpr_read_b32 v9, a15
	v_lshl_add_u64 v[56:57], v[2:3], 4, v[8:9]
	v_add_u32_e32 v27, 1, v28
	s_mov_b64 s[34:35], 0
	v_mov_b32_e32 v44, v0
	v_ashrrev_i32_e32 v7, 31, v6
	v_mul_lo_u32 v8, v41, v6
	v_mad_u64_u32 v[2:3], s[12:13], v40, v6, 0
	v_mul_lo_u32 v6, v40, v7
	v_add3_u32 v3, v3, v6, v8
	v_lshl_add_u64 v[2:3], v[2:3], 3, v[4:5]
	v_lshl_add_u64 v[42:43], v[0:1], 3, v[2:3]
	s_branch .LBB2_147
.LBB2_146:                              ;   in Loop: Header=BB2_147 Depth=2
	v_sub_u32_e32 v26, v26, v16
	v_cmp_gt_i32_e32 vcc, 1, v26
	v_lshl_add_u64 v[42:43], v[42:43], 0, v[24:25]
	v_lshl_add_u64 v[20:21], v[20:21], 0, v[24:25]
	s_or_b64 s[34:35], vcc, s[34:35]
	v_add_u32_e32 v44, v44, v16
	s_andn2_b64 exec, exec, s[34:35]
	s_cbranch_execz .LBB2_163
.LBB2_147:                              ;   Parent Loop BB2_21 Depth=1
                                        ; =>  This Loop Header: Depth=2
                                        ;       Child Loop BB2_151 Depth 3
	v_ashrrev_i32_e32 v45, 31, v44
	v_lshl_add_u64 v[52:53], v[44:45], 4, v[56:57]
	global_load_dwordx2 v[6:7], v[42:43], off nt
	global_load_dwordx4 v[2:5], v[52:53], off nt
	v_cmp_eq_u32_e32 vcc, 0, v36
	s_and_saveexec_b64 s[36:37], vcc
	s_cbranch_execz .LBB2_159
; %bb.148:                              ;   in Loop: Header=BB2_147 Depth=2
	s_waitcnt vmcnt(0)
	v_cmp_ne_u32_e32 vcc, v27, v3
	v_cmp_ne_u32_e64 s[12:13], v27, v5
	s_or_b64 s[12:13], vcc, s[12:13]
	v_mov_b32_e32 v36, 0
	s_and_saveexec_b64 s[38:39], s[12:13]
	s_cbranch_execz .LBB2_158
; %bb.149:                              ;   in Loop: Header=BB2_147 Depth=2
	s_mov_b32 s44, 1
	s_mov_b64 s[40:41], 0
	v_mov_b32_e32 v36, 0
	s_branch .LBB2_151
.LBB2_150:                              ;   in Loop: Header=BB2_151 Depth=3
	s_or_b64 exec, exec, s[42:43]
	s_and_b64 s[12:13], exec, s[12:13]
	s_or_b64 s[40:41], s[12:13], s[40:41]
	s_andn2_b64 exec, exec, s[40:41]
	s_cbranch_execz .LBB2_157
.LBB2_151:                              ;   Parent Loop BB2_21 Depth=1
                                        ;     Parent Loop BB2_147 Depth=2
                                        ; =>    This Inner Loop Header: Depth=3
	global_load_dwordx4 v[2:5], v[52:53], off nt
	s_add_i32 s44, s44, 1
	s_cmpk_lg_i32 s44, 0x2710
	s_cbranch_scc1 .LBB2_155
; %bb.152:                              ;   in Loop: Header=BB2_151 Depth=3
	s_trap 2
	ds_read_b64 v[8:9], v0
	s_waitcnt vmcnt(0) lgkmcnt(0)
	flat_load_dword v8, v[8:9] sc0 sc1
	s_waitcnt vmcnt(0) lgkmcnt(0)
	buffer_inv sc0 sc1
	v_cmp_ne_u32_e32 vcc, 0, v8
	s_and_saveexec_b64 s[12:13], vcc
	s_cbranch_execz .LBB2_154
; %bb.153:                              ;   in Loop: Header=BB2_151 Depth=3
	v_mov_b32_e32 v36, 1
	ds_write_b32 v0, v8
	s_trap 2
.LBB2_154:                              ;   in Loop: Header=BB2_151 Depth=3
	s_or_b64 exec, exec, s[12:13]
	s_mov_b32 s44, 0
	v_mov_b32_e32 v8, v36
	v_cmp_eq_u32_e32 vcc, 0, v8
	s_mov_b64 s[12:13], -1
	s_and_saveexec_b64 s[42:43], vcc
	s_cbranch_execz .LBB2_150
	s_branch .LBB2_156
.LBB2_155:                              ;   in Loop: Header=BB2_151 Depth=3
	v_mov_b32_e32 v8, 0
	v_cmp_eq_u32_e32 vcc, 0, v8
	s_mov_b64 s[12:13], -1
	s_and_saveexec_b64 s[42:43], vcc
	s_cbranch_execz .LBB2_150
.LBB2_156:                              ;   in Loop: Header=BB2_151 Depth=3
	s_waitcnt vmcnt(0)
	v_cmp_eq_u32_e32 vcc, v27, v3
	v_cmp_eq_u32_e64 s[12:13], v27, v5
	s_and_b64 s[12:13], vcc, s[12:13]
	s_orn2_b64 s[12:13], s[12:13], exec
	s_branch .LBB2_150
.LBB2_157:                              ;   in Loop: Header=BB2_147 Depth=2
	s_or_b64 exec, exec, s[40:41]
.LBB2_158:                              ;   in Loop: Header=BB2_147 Depth=2
	s_or_b64 exec, exec, s[38:39]
.LBB2_159:                              ;   in Loop: Header=BB2_147 Depth=2
	s_or_b64 exec, exec, s[36:37]
	s_waitcnt vmcnt(0)
	v_mul_lo_u32 v4, v4, v6
	v_mul_lo_u32 v5, v2, v7
	v_mad_u64_u32 v[2:3], s[12:13], v2, v6, 0
	v_add3_u32 v3, v3, v5, v4
	v_mov_b32_e32 v4, v30
	;;#ASMSTART
	;;#ASMEND
	s_mov_b64 s[12:13], -1
	v_cmp_ne_u32_e32 vcc, 0, v4
	s_cmp_lg_u64 vcc, exec
	s_cbranch_scc0 .LBB2_161
; %bb.160:                              ;   in Loop: Header=BB2_147 Depth=2
	flat_store_dwordx2 v[20:21], v[2:3]
	s_mov_b64 s[12:13], 0
.LBB2_161:                              ;   in Loop: Header=BB2_147 Depth=2
	s_andn2_b64 vcc, exec, s[12:13]
	s_cbranch_vccnz .LBB2_146
; %bb.162:                              ;   in Loop: Header=BB2_147 Depth=2
	global_store_dwordx2 v[20:21], v[2:3], off
	s_branch .LBB2_146
.LBB2_163:                              ;   in Loop: Header=BB2_21 Depth=1
	s_or_b64 exec, exec, s[34:35]
.LBB2_164:                              ;   in Loop: Header=BB2_21 Depth=1
	s_or_b64 exec, exec, s[14:15]
	v_accvgpr_read_b32 v21, a7
	v_accvgpr_read_b32 v57, a27
	;; [unrolled: 1-line block ×4, first 2 shown]
	s_and_saveexec_b64 s[12:13], s[6:7]
	s_cbranch_execz .LBB2_183
; %bb.165:                              ;   in Loop: Header=BB2_21 Depth=1
	s_and_saveexec_b64 s[14:15], s[26:27]
	s_xor_b64 s[14:15], exec, s[14:15]
	s_cbranch_execz .LBB2_180
; %bb.166:                              ;   in Loop: Header=BB2_21 Depth=1
	s_and_saveexec_b64 s[34:35], s[8:9]
	s_cbranch_execz .LBB2_179
; %bb.167:                              ;   in Loop: Header=BB2_21 Depth=1
	s_mov_b64 s[38:39], exec
	v_mbcnt_lo_u32_b32 v2, s38, 0
	v_mbcnt_hi_u32_b32 v2, s39, v2
	v_cmp_eq_u32_e32 vcc, 0, v2
	s_waitcnt lgkmcnt(0)
	s_and_saveexec_b64 s[36:37], vcc
	s_cbranch_execz .LBB2_169
; %bb.168:                              ;   in Loop: Header=BB2_21 Depth=1
	s_bcnt1_i32_b64 vcc_lo, s[38:39]
	v_mov_b32_e32 v54, vcc_lo
	ds_add_u64 v0, v[54:55]
	s_trap 2
.LBB2_169:                              ;   in Loop: Header=BB2_21 Depth=1
	s_or_b64 exec, exec, s[36:37]
	s_trap 2
	ds_read_b64 v[2:3], v0
	s_waitcnt vmcnt(0)
	v_accvgpr_read_b32 v4, a20
	v_accvgpr_read_b32 v5, a21
	v_lshl_add_u64 v[50:51], v[50:51], 0, v[4:5]
	s_waitcnt lgkmcnt(0)
	v_cmp_lt_u64_e32 vcc, v[2:3], v[50:51]
	s_and_saveexec_b64 s[36:37], vcc
	s_cbranch_execz .LBB2_178
; %bb.170:                              ;   in Loop: Header=BB2_21 Depth=1
	s_mov_b32 s48, 0
	s_mov_b64 s[38:39], 0
                                        ; implicit-def: $sgpr40_sgpr41
                                        ; implicit-def: $sgpr42_sgpr43
	s_branch .LBB2_172
.LBB2_171:                              ;   in Loop: Header=BB2_172 Depth=2
	s_or_b64 exec, exec, s[46:47]
	s_and_b64 vcc, exec, vcc
	s_or_b64 s[38:39], vcc, s[38:39]
	s_andn2_b64 vcc, s[40:41], exec
	s_and_b64 s[40:41], s[42:43], exec
	s_or_b64 s[40:41], vcc, s[40:41]
	s_andn2_b64 exec, exec, s[38:39]
	s_cbranch_execz .LBB2_176
.LBB2_172:                              ;   Parent Loop BB2_21 Depth=1
                                        ; =>  This Inner Loop Header: Depth=2
	s_add_i32 s48, s48, 1
	s_cmpk_lg_i32 s48, 0x2710
	s_cselect_b64 s[44:45], -1, 0
	s_and_b64 vcc, exec, s[44:45]
                                        ; implicit-def: $sgpr46_sgpr47
	s_cbranch_vccnz .LBB2_174
; %bb.173:                              ;   in Loop: Header=BB2_172 Depth=2
	s_trap 2
	ds_read_b64 v[2:3], v0
	s_andn2_b64 s[44:45], s[44:45], exec
	s_mov_b32 s48, 0
	s_mov_b64 s[46:47], -1
	s_waitcnt lgkmcnt(0)
	flat_load_dword v2, v[2:3] sc0 sc1
	s_waitcnt vmcnt(0) lgkmcnt(0)
	buffer_inv sc0 sc1
	v_cmp_eq_u32_e32 vcc, 0, v2
	s_and_b64 vcc, vcc, exec
	s_or_b64 s[44:45], s[44:45], vcc
.LBB2_174:                              ;   in Loop: Header=BB2_172 Depth=2
	s_andn2_b64 s[42:43], s[42:43], exec
	s_and_b64 s[46:47], s[46:47], exec
	s_mov_b64 vcc, -1
	s_or_b64 s[42:43], s[42:43], s[46:47]
	s_and_saveexec_b64 s[46:47], s[44:45]
	s_cbranch_execz .LBB2_171
; %bb.175:                              ;   in Loop: Header=BB2_172 Depth=2
	s_sleep 1
	s_trap 2
	ds_read_b64 v[2:3], v0
	s_andn2_b64 s[42:43], s[42:43], exec
	s_waitcnt lgkmcnt(0)
	v_cmp_ge_u64_e32 vcc, v[2:3], v[50:51]
	s_orn2_b64 vcc, vcc, exec
	s_branch .LBB2_171
.LBB2_176:                              ;   in Loop: Header=BB2_21 Depth=1
	s_or_b64 exec, exec, s[38:39]
	s_and_saveexec_b64 vcc, s[40:41]
	s_xor_b64 vcc, exec, vcc
	s_cbranch_execz .LBB2_178
; %bb.177:                              ;   in Loop: Header=BB2_21 Depth=1
	v_mov_b32_e32 v2, 1
	ds_write_b32 v0, v2
	s_trap 2
.LBB2_178:                              ;   in Loop: Header=BB2_21 Depth=1
	s_or_b64 exec, exec, s[36:37]
	;;#ASMSTART
	s_wakeup
	;;#ASMEND
.LBB2_179:                              ;   in Loop: Header=BB2_21 Depth=1
	s_or_b64 exec, exec, s[34:35]
.LBB2_180:                              ;   in Loop: Header=BB2_21 Depth=1
	s_andn2_saveexec_b64 s[14:15], s[14:15]
	s_cbranch_execz .LBB2_182
; %bb.181:                              ;   in Loop: Header=BB2_21 Depth=1
	s_waitcnt lgkmcnt(0)
	s_barrier
.LBB2_182:                              ;   in Loop: Header=BB2_21 Depth=1
	s_or_b64 exec, exec, s[14:15]
.LBB2_183:                              ;   in Loop: Header=BB2_21 Depth=1
	s_or_b64 exec, exec, s[12:13]
	s_and_saveexec_b64 s[12:13], s[10:11]
	s_cbranch_execz .LBB2_20
; %bb.184:                              ;   in Loop: Header=BB2_21 Depth=1
	v_accvgpr_read_b32 v2, a16
	v_lshl_add_u64 v[34:35], v[34:35], 0, 1
	v_accvgpr_read_b32 v3, a17
	flat_store_dwordx2 v[2:3], v[34:35] sc0 sc1
	s_branch .LBB2_20
.LBB2_185:
	s_or_b64 exec, exec, s[24:25]
	v_accvgpr_read_b32 v21, a11
	v_accvgpr_read_b32 v27, a13
	;; [unrolled: 1-line block ×5, first 2 shown]
.LBB2_186:
	s_or_b64 exec, exec, s[20:21]
; %bb.187:
	s_and_saveexec_b64 s[2:3], s[18:19]
	s_cbranch_execnz .LBB2_190
; %bb.188:
	s_or_b64 exec, exec, s[2:3]
	s_and_saveexec_b64 s[2:3], s[0:1]
	s_cbranch_execnz .LBB2_191
.LBB2_189:
	s_or_b64 exec, exec, s[2:3]
	v_cmp_ne_u32_e32 vcc, 64, v16
	s_and_saveexec_b64 s[0:1], vcc
	s_cbranch_execnz .LBB2_192
	s_branch .LBB2_209
.LBB2_190:
	s_waitcnt vmcnt(0) lgkmcnt(0)
	flat_store_dwordx2 v[26:27], v[34:35] offset:104
	s_or_b64 exec, exec, s[2:3]
	s_and_saveexec_b64 s[2:3], s[0:1]
	s_cbranch_execz .LBB2_189
.LBB2_191:
	s_waitcnt vmcnt(0) lgkmcnt(0)
	flat_store_dwordx2 v[20:21], v[14:15] offset:104
	s_or_b64 exec, exec, s[2:3]
	v_cmp_ne_u32_e32 vcc, 64, v16
	s_and_saveexec_b64 s[0:1], vcc
	s_cbranch_execz .LBB2_209
.LBB2_192:
	v_cmp_ne_u32_sdwa s[2:3], v17, v16 src0_sel:WORD_0 src1_sel:DWORD
	s_and_saveexec_b64 s[4:5], s[2:3]
	s_xor_b64 s[2:3], exec, s[4:5]
	s_cbranch_execz .LBB2_207
; %bb.193:
	v_and_b32_e32 v0, 63, v31
	v_cmp_eq_u32_e32 vcc, 0, v0
	s_and_saveexec_b64 s[4:5], vcc
	s_cbranch_execz .LBB2_206
; %bb.194:
	s_mov_b64 s[8:9], exec
	v_mbcnt_lo_u32_b32 v0, s8, 0
	v_mbcnt_hi_u32_b32 v0, s9, v0
	v_cmp_eq_u32_e32 vcc, 0, v0
	s_waitcnt lgkmcnt(0)
	s_and_saveexec_b64 s[6:7], vcc
	s_cbranch_execz .LBB2_196
; %bb.195:
	s_bcnt1_i32_b64 s8, s[8:9]
	v_mov_b32_e32 v0, s8
	v_mov_b32_e32 v1, 0
	ds_add_u64 v0, v[0:1]
	s_trap 2
.LBB2_196:
	s_or_b64 exec, exec, s[6:7]
	v_ashrrev_i32_e32 v0, 31, v16
	v_lshrrev_b32_e32 v0, 26, v0
	s_trap 2
	ds_read_b64 v[2:3], v0
	v_add_u32_e32 v0, v16, v0
	v_ashrrev_i32_e32 v0, 6, v0
	v_ashrrev_i32_e32 v1, 31, v0
	v_lshl_add_u64 v[0:1], v[50:51], 0, v[0:1]
	s_waitcnt lgkmcnt(0)
	v_cmp_lt_u64_e32 vcc, v[2:3], v[0:1]
	s_and_saveexec_b64 s[6:7], vcc
	s_cbranch_execz .LBB2_205
; %bb.197:
	s_mov_b32 s20, 0
	s_mov_b64 s[8:9], 0
                                        ; implicit-def: $sgpr10_sgpr11
                                        ; implicit-def: $sgpr12_sgpr13
	s_branch .LBB2_199
.LBB2_198:                              ;   in Loop: Header=BB2_199 Depth=1
	s_or_b64 exec, exec, s[18:19]
	s_and_b64 s[14:15], exec, s[16:17]
	s_or_b64 s[8:9], s[14:15], s[8:9]
	s_andn2_b64 s[10:11], s[10:11], exec
	s_and_b64 s[14:15], s[12:13], exec
	s_or_b64 s[10:11], s[10:11], s[14:15]
	s_andn2_b64 exec, exec, s[8:9]
	s_cbranch_execz .LBB2_203
.LBB2_199:                              ; =>This Inner Loop Header: Depth=1
	s_add_i32 s20, s20, 1
	s_cmpk_lg_i32 s20, 0x2710
	s_cselect_b64 s[14:15], -1, 0
	s_and_b64 vcc, exec, s[14:15]
                                        ; implicit-def: $sgpr18_sgpr19
	s_cbranch_vccnz .LBB2_201
; %bb.200:                              ;   in Loop: Header=BB2_199 Depth=1
	s_trap 2
	ds_read_b64 v[2:3], v0
	s_andn2_b64 s[14:15], s[14:15], exec
	s_mov_b32 s20, 0
	s_mov_b64 s[18:19], -1
	s_waitcnt vmcnt(0) lgkmcnt(0)
	flat_load_dword v2, v[2:3] sc0 sc1
	s_waitcnt vmcnt(0) lgkmcnt(0)
	buffer_inv sc0 sc1
	v_cmp_eq_u32_e32 vcc, 0, v2
	s_and_b64 s[16:17], vcc, exec
	s_or_b64 s[14:15], s[14:15], s[16:17]
.LBB2_201:                              ;   in Loop: Header=BB2_199 Depth=1
	s_andn2_b64 s[12:13], s[12:13], exec
	s_and_b64 s[18:19], s[18:19], exec
	s_mov_b64 s[16:17], -1
	s_or_b64 s[12:13], s[12:13], s[18:19]
	s_and_saveexec_b64 s[18:19], s[14:15]
	s_cbranch_execz .LBB2_198
; %bb.202:                              ;   in Loop: Header=BB2_199 Depth=1
	s_sleep 1
	s_trap 2
	ds_read_b64 v[2:3], v0
	s_andn2_b64 s[12:13], s[12:13], exec
	s_waitcnt lgkmcnt(0)
	v_cmp_ge_u64_e32 vcc, v[2:3], v[0:1]
	s_orn2_b64 s[16:17], vcc, exec
	s_branch .LBB2_198
.LBB2_203:
	s_or_b64 exec, exec, s[8:9]
	s_and_saveexec_b64 s[8:9], s[10:11]
	s_xor_b64 s[8:9], exec, s[8:9]
	s_cbranch_execz .LBB2_205
; %bb.204:
	v_mov_b32_e32 v0, 1
	ds_write_b32 v0, v0
	s_trap 2
.LBB2_205:
	s_or_b64 exec, exec, s[6:7]
	;;#ASMSTART
	s_wakeup
	;;#ASMEND
.LBB2_206:
	s_or_b64 exec, exec, s[4:5]
.LBB2_207:
	s_andn2_saveexec_b64 s[2:3], s[2:3]
	s_cbranch_execz .LBB2_209
; %bb.208:
	s_waitcnt lgkmcnt(0)
	s_barrier
.LBB2_209:
	s_or_b64 exec, exec, s[0:1]
	scratch_load_dword a35, off, s32        ; 4-byte Folded Reload
	scratch_load_dword a34, off, s32 offset:4 ; 4-byte Folded Reload
	scratch_load_dword a33, off, s32 offset:8 ; 4-byte Folded Reload
	;; [unrolled: 1-line block ×18, first 2 shown]
	v_readlane_b32 s30, v63, 18
	v_readlane_b32 s31, v63, 19
	;; [unrolled: 1-line block ×20, first 2 shown]
	s_or_saveexec_b64 s[0:1], -1
	scratch_load_dword v63, off, s32 offset:76 ; 4-byte Folded Reload
	s_mov_b64 exec, s[0:1]
	s_waitcnt vmcnt(0) lgkmcnt(0)
	s_setpc_b64 s[30:31]
.Lfunc_end2:
	.size	_ZN12_GLOBAL__N_17runRingIm8FuncProdImE7ProtoLLLi0ELi2ELi0EEEviiP15ncclDevWorkColl, .Lfunc_end2-_ZN12_GLOBAL__N_17runRingIm8FuncProdImE7ProtoLLLi0ELi2ELi0EEEviiP15ncclDevWorkColl
                                        ; -- End function
	.section	.AMDGPU.csdata,"",@progbits
; Function info:
; codeLenInByte = 7148
; NumSgprs: 58
; NumVgprs: 64
; NumAgprs: 36
; TotalNumVgprs: 100
; ScratchSize: 84
; MemoryBound: 0
	.text
	.p2align	2                               ; -- Begin function _Z48ncclDevFunc_ReduceScatter_RING_LL_Prod_u64_0_0_2v
	.type	_Z48ncclDevFunc_ReduceScatter_RING_LL_Prod_u64_0_0_2v,@function
_Z48ncclDevFunc_ReduceScatter_RING_LL_Prod_u64_0_0_2v: ; @_Z48ncclDevFunc_ReduceScatter_RING_LL_Prod_u64_0_0_2v
; %bb.0:
	s_waitcnt vmcnt(0) expcnt(0) lgkmcnt(0)
	s_mov_b32 s0, s33
	s_mov_b32 s33, s32
	s_or_saveexec_b64 s[2:3], -1
	scratch_store_dword off, v42, s33 offset:12 ; 4-byte Folded Spill
	s_mov_b64 exec, s[2:3]
	v_writelane_b32 v42, s0, 28
	s_add_i32 s32, s32, 32
	scratch_store_dword off, v40, s33 offset:8 ; 4-byte Folded Spill
	scratch_store_dword off, v41, s33 offset:4 ; 4-byte Folded Spill
	scratch_store_dword off, v63, s33       ; 4-byte Folded Spill
	v_writelane_b32 v42, s34, 0
	v_writelane_b32 v42, s35, 1
	v_writelane_b32 v42, s36, 2
	v_writelane_b32 v42, s37, 3
	v_writelane_b32 v42, s38, 4
	v_writelane_b32 v42, s39, 5
	v_writelane_b32 v42, s40, 6
	v_writelane_b32 v42, s41, 7
	v_writelane_b32 v42, s42, 8
	v_writelane_b32 v42, s43, 9
	v_writelane_b32 v42, s44, 10
	v_writelane_b32 v42, s45, 11
	v_writelane_b32 v42, s46, 12
	v_writelane_b32 v42, s47, 13
	v_writelane_b32 v42, s48, 14
	v_writelane_b32 v42, s49, 15
	v_writelane_b32 v42, s50, 16
	v_writelane_b32 v42, s51, 17
	v_writelane_b32 v42, s52, 18
	v_writelane_b32 v42, s53, 19
	v_writelane_b32 v42, s54, 20
	v_writelane_b32 v42, s55, 21
	v_writelane_b32 v42, s56, 22
	v_writelane_b32 v42, s57, 23
	v_writelane_b32 v42, s58, 24
	v_writelane_b32 v42, s59, 25
	v_writelane_b32 v42, s30, 26
	s_nop 1
	v_writelane_b32 v42, s31, 27
	s_trap 2
	ds_read_b32 v0, v0
	s_mov_b32 s54, s12
	s_mov_b64 s[52:53], s[8:9]
	s_waitcnt lgkmcnt(0)
	v_cmp_gt_i32_e32 vcc, 1, v0
	s_cbranch_vccnz .LBB3_8
; %bb.1:
	s_mov_b32 s55, 0
	v_and_b32_e32 v40, 0x3ff, v31
	s_mov_b64 s[56:57], src_shared_base
	v_mov_b32_e32 v41, 6
	s_branch .LBB3_3
.LBB3_2:                                ;   in Loop: Header=BB3_3 Depth=1
	s_or_b64 exec, exec, s[58:59]
	s_trap 2
	ds_read_b32 v0, v0
	s_add_i32 s55, s55, 1
	s_waitcnt lgkmcnt(0)
	v_cmp_lt_i32_e32 vcc, s55, v0
	s_cbranch_vccz .LBB3_8
.LBB3_3:                                ; =>This Inner Loop Header: Depth=1
	s_trap 2
	ds_read_b32 v0, v0
	s_cmp_eq_u32 s55, 0
	s_cbranch_scc1 .LBB3_6
; %bb.4:                                ;   in Loop: Header=BB3_3 Depth=1
	s_trap 2
	s_waitcnt lgkmcnt(0)
	ds_read_b32 v1, v0
	s_waitcnt lgkmcnt(0)
	v_xor_b32_e32 v1, v1, v0
	v_and_b32_e32 v1, 0xff0000, v1
	v_cmp_eq_u32_e32 vcc, 0, v1
	s_cbranch_vccnz .LBB3_6
; %bb.5:                                ;   in Loop: Header=BB3_3 Depth=1
	s_barrier
	ds_read_b32 v0, v0
.LBB3_6:                                ;   in Loop: Header=BB3_3 Depth=1
	s_waitcnt lgkmcnt(0)
	v_lshlrev_b32_sdwa v1, v41, v0 dst_sel:DWORD dst_unused:UNUSED_PAD src0_sel:DWORD src1_sel:BYTE_2
	v_cmp_lt_u32_e32 vcc, v40, v1
	s_and_saveexec_b64 s[58:59], vcc
	s_cbranch_execz .LBB3_2
; %bb.7:                                ;   in Loop: Header=BB3_3 Depth=1
	s_mov_b64 s[8:9], s[52:53]
	s_mov_b32 s12, s54
	v_mov_b32_e32 v0, v40
	v_mov_b32_e32 v3, s57
	s_getpc_b64 s[0:1]
	s_add_u32 s0, s0, _ZN12_GLOBAL__N_17runRingIm8FuncProdImE7ProtoLLLi0ELi2ELi0EEEviiP15ncclDevWorkColl@rel32@lo+4
	s_addc_u32 s1, s1, _ZN12_GLOBAL__N_17runRingIm8FuncProdImE7ProtoLLLi0ELi2ELi0EEEviiP15ncclDevWorkColl@rel32@hi+12
	s_swappc_b64 s[30:31], s[0:1]
	s_branch .LBB3_2
.LBB3_8:
	scratch_load_dword v63, off, s33        ; 4-byte Folded Reload
	scratch_load_dword v41, off, s33 offset:4 ; 4-byte Folded Reload
	scratch_load_dword v40, off, s33 offset:8 ; 4-byte Folded Reload
	v_readlane_b32 s30, v42, 26
	v_readlane_b32 s31, v42, 27
	;; [unrolled: 1-line block ×29, first 2 shown]
	s_or_saveexec_b64 s[2:3], -1
	scratch_load_dword v42, off, s33 offset:12 ; 4-byte Folded Reload
	s_mov_b64 exec, s[2:3]
	s_addk_i32 s32, 0xffe0
	s_mov_b32 s33, s0
	s_waitcnt vmcnt(0)
	s_setpc_b64 s[30:31]
.Lfunc_end3:
	.size	_Z48ncclDevFunc_ReduceScatter_RING_LL_Prod_u64_0_0_2v, .Lfunc_end3-_Z48ncclDevFunc_ReduceScatter_RING_LL_Prod_u64_0_0_2v
                                        ; -- End function
	.section	.AMDGPU.csdata,"",@progbits
; Function info:
; codeLenInByte = 808
; NumSgprs: 66
; NumVgprs: 64
; NumAgprs: 36
; TotalNumVgprs: 100
; ScratchSize: 116
; MemoryBound: 0
	.text
	.p2align	2                               ; -- Begin function _ZN12_GLOBAL__N_17runRingIm8FuncProdImE7ProtoLLLi0ELi4ELi0EEEviiP15ncclDevWorkColl
	.type	_ZN12_GLOBAL__N_17runRingIm8FuncProdImE7ProtoLLLi0ELi4ELi0EEEviiP15ncclDevWorkColl,@function
_ZN12_GLOBAL__N_17runRingIm8FuncProdImE7ProtoLLLi0ELi4ELi0EEEviiP15ncclDevWorkColl: ; @_ZN12_GLOBAL__N_17runRingIm8FuncProdImE7ProtoLLLi0ELi4ELi0EEEviiP15ncclDevWorkColl
; %bb.0:
	s_waitcnt vmcnt(0) expcnt(0) lgkmcnt(0)
	s_or_saveexec_b64 s[0:1], -1
	scratch_store_dword off, v63, s32 offset:76 ; 4-byte Folded Spill
	s_mov_b64 exec, s[0:1]
	scratch_store_dword off, v40, s32 offset:72 ; 4-byte Folded Spill
	scratch_store_dword off, v41, s32 offset:68 ; 4-byte Folded Spill
	;; [unrolled: 1-line block ×18, first 2 shown]
	scratch_store_dword off, a35, s32       ; 4-byte Folded Spill
	v_writelane_b32 v63, s34, 0
	v_writelane_b32 v63, s35, 1
	;; [unrolled: 1-line block ×19, first 2 shown]
	s_nop 1
	v_writelane_b32 v63, s31, 19
	s_trap 2
	flat_load_dword v5, v[2:3]
	flat_load_dwordx4 v[56:59], v[2:3] offset:72
	flat_load_dwordx2 v[8:9], v[2:3] offset:88
	v_mov_b32_e32 v16, v1
	ds_read_b32 v1, v0
	ds_read_b64 v[18:19], v0
                                        ; implicit-def: $vgpr22_vgpr23
                                        ; implicit-def: $vgpr60_vgpr61
	s_waitcnt lgkmcnt(0)
	v_readfirstlane_b32 s16, v1
	s_waitcnt vmcnt(0)
	v_not_b32_sdwa v4, v5 dst_sel:DWORD dst_unused:UNUSED_PAD src0_sel:BYTE_0
	v_add_u32_sdwa v6, v5, v4 dst_sel:DWORD dst_unused:UNUSED_PAD src0_sel:BYTE_1 src1_sel:DWORD
	v_ashrrev_i32_e32 v7, 31, v6
	v_mul_lo_u32 v10, v59, v6
	v_mad_u64_u32 v[24:25], s[0:1], v58, v6, 0
	v_mul_lo_u32 v6, v58, v7
	v_add3_u32 v25, v25, v6, v10
	v_cmp_ne_u32_sdwa s[0:1], v5, v1 src0_sel:BYTE_0 src1_sel:DWORD
	s_and_saveexec_b64 s[2:3], s[0:1]
	s_xor_b64 s[0:1], exec, s[2:3]
	s_cbranch_execz .LBB4_6
; %bb.1:
	v_cmp_ne_u32_sdwa s[2:3], v5, v1 src0_sel:BYTE_1 src1_sel:DWORD
                                        ; implicit-def: $vgpr22_vgpr23
                                        ; implicit-def: $vgpr60_vgpr61
	s_and_saveexec_b64 s[4:5], s[2:3]
	s_xor_b64 s[2:3], exec, s[4:5]
	s_cbranch_execz .LBB4_3
; %bb.2:
	flat_load_dwordx2 v[6:7], v[2:3] offset:96
	v_add_u32_e32 v1, v1, v4
	v_ashrrev_i32_e32 v4, 31, v1
	v_mul_lo_u32 v4, v58, v4
	v_mul_lo_u32 v5, v59, v1
	v_mad_u64_u32 v[60:61], s[4:5], v58, v1, v[56:57]
	v_add3_u32 v61, v5, v61, v4
	s_waitcnt vmcnt(0) lgkmcnt(0)
	v_lshrrev_b64 v[22:23], 20, v[6:7]
.LBB4_3:
	s_andn2_saveexec_b64 s[2:3], s[2:3]
	s_cbranch_execz .LBB4_5
; %bb.4:
	flat_load_dword v1, v[2:3] offset:100
	v_lshl_add_u64 v[60:61], v[24:25], 0, v[56:57]
	v_mov_b64_e32 v[58:59], v[8:9]
	s_waitcnt vmcnt(0) lgkmcnt(0)
	v_lshrrev_b32_e32 v22, 9, v1
.LBB4_5:
	s_or_b64 exec, exec, s[2:3]
.LBB4_6:
	s_andn2_saveexec_b64 s[0:1], s[0:1]
	s_cbranch_execz .LBB4_8
; %bb.7:
	flat_load_dwordx2 v[4:5], v[2:3] offset:96
	v_mov_b64_e32 v[60:61], 0
	v_mov_b64_e32 v[58:59], v[56:57]
	s_waitcnt vmcnt(0) lgkmcnt(0)
	v_lshlrev_b64 v[22:23], 1, v[4:5]
.LBB4_8:
	s_or_b64 exec, exec, s[0:1]
	flat_load_ushort v5, v[2:3] offset:8
	flat_load_dword v4, v[2:3] offset:4
	s_load_dword s0, s[8:9], 0x0
	flat_load_dwordx4 a[6:9], v[2:3] offset:16
	v_mov_b32_e32 v3, 0
	v_ashrrev_i32_e32 v1, 31, v0
	v_lshrrev_b32_e32 v6, 26, v1
	s_waitcnt lgkmcnt(0)
	s_cmp_lt_u32 s12, s0
	s_cselect_b32 s0, 12, 18
	s_add_u32 s0, s8, s0
	s_addc_u32 s1, s9, 0
	global_load_ushort v17, v3, s[0:1]
	s_trap 2
	ds_read_b32 v2, v0
	s_mov_b32 s2, 0
	v_mov_b64_e32 v[20:21], 0
	s_waitcnt lgkmcnt(0)
	v_cmp_gt_i32_e32 vcc, 0, v2
	s_and_b64 vcc, exec, vcc
	s_waitcnt vmcnt(0)
	v_lshrrev_b64 v[4:5], 31, v[4:5]
	v_and_b32_e32 v7, 3, v4
	v_add_u32_e32 v4, v0, v6
	v_and_b32_e32 v4, 0xffffffc0, v4
	v_sub_u32_e32 v6, v0, v4
	v_cmp_eq_u32_e64 s[0:1], 0, v6
	s_cbranch_vccnz .LBB4_10
; %bb.9:
	s_trap 2
	ds_read_b64 v[4:5], v0
	v_lshlrev_b64 v[10:11], 3, v[2:3]
	v_and_b32_e32 v3, 0xffff, v7
	s_movk_i32 s2, 0xa8
	s_waitcnt lgkmcnt(0)
	v_lshl_add_u64 v[4:5], v[4:5], 0, v[10:11]
	flat_load_dwordx2 v[4:5], v[4:5]
	s_waitcnt vmcnt(0) lgkmcnt(0)
	v_mad_u64_u32 v[4:5], s[2:3], v3, s2, v[4:5]
	flat_load_dwordx2 a[14:15], v[4:5] offset:504
	flat_load_dwordx2 v[28:29], v[4:5] offset:608
	s_mov_b64 s[2:3], 0x1f8
	v_lshl_add_u64 v[4:5], v[4:5], 0, s[2:3]
	v_cndmask_b32_e64 v27, 0, v5, s[0:1]
	v_cndmask_b32_e64 v26, 0, v4, s[0:1]
	s_mov_b32 s2, 1
	s_branch .LBB4_11
.LBB4_10:
	v_mov_b64_e32 v[26:27], v[20:21]
                                        ; implicit-def: $vgpr28_vgpr29
                                        ; implicit-def: $agpr14_agpr15
.LBB4_11:
	s_trap 2
	ds_read_b32 v4, v0
	s_waitcnt lgkmcnt(0)
	v_cmp_gt_i32_e32 vcc, 0, v4
	s_cbranch_vccnz .LBB4_13
; %bb.12:
	s_trap 2
	ds_read_b64 v[10:11], v0
	v_mov_b32_e32 v5, 0
	v_lshlrev_b64 v[4:5], 3, v[4:5]
	v_and_b32_e32 v3, 0xffff, v7
	s_movk_i32 s0, 0xa8
	s_waitcnt lgkmcnt(0)
	v_lshl_add_u64 v[4:5], v[10:11], 0, v[4:5]
	flat_load_dwordx2 v[4:5], v[4:5]
	v_cmp_eq_u32_e32 vcc, 0, v6
	s_waitcnt vmcnt(0) lgkmcnt(0)
	v_mad_u64_u32 v[4:5], s[0:1], v3, s0, v[4:5]
	flat_load_dwordx2 v[32:33], v[4:5]
	flat_load_dwordx2 v[10:11], v[4:5] offset:104
	v_cndmask_b32_e32 v21, 0, v5, vcc
	v_cndmask_b32_e32 v20, 0, v4, vcc
	s_branch .LBB4_14
.LBB4_13:
                                        ; implicit-def: $vgpr10_vgpr11
                                        ; implicit-def: $vgpr32_vgpr33
.LBB4_14:
	v_subrev_u32_e32 v3, 64, v16
	v_mov_b64_e32 v[12:13], 0
	v_cmp_le_i32_e32 vcc, v3, v0
	v_cmp_gt_i32_e64 s[0:1], s2, v6
	v_accvgpr_write_b32 a17, v13
	s_and_b64 s[18:19], vcc, s[0:1]
	v_accvgpr_write_b32 a16, v12
                                        ; implicit-def: $vgpr34_vgpr35
	s_and_saveexec_b64 s[0:1], s[18:19]
	s_cbranch_execz .LBB4_16
; %bb.15:
	flat_load_dwordx2 a[16:17], v[26:27] offset:56
	flat_load_dwordx2 v[34:35], v[26:27] offset:104
.LBB4_16:
	s_or_b64 exec, exec, s[0:1]
	v_cmp_gt_i32_e64 s[0:1], s2, v0
	v_mov_b64_e32 v[38:39], v[12:13]
                                        ; implicit-def: $vgpr48_vgpr49
	s_and_saveexec_b64 s[2:3], s[0:1]
	s_cbranch_execz .LBB4_18
; %bb.17:
	flat_load_dwordx2 v[38:39], v[20:21] offset:56
	s_waitcnt vmcnt(0) lgkmcnt(0)
	flat_load_dwordx2 v[48:49], v[38:39] sc0 sc1
	s_waitcnt vmcnt(0)
	flat_load_dwordx4 v[12:15], v[20:21] offset:96
.LBB4_18:
	s_or_b64 exec, exec, s[2:3]
	v_cmp_ne_u64_e32 vcc, 0, v[58:59]
	v_mov_b64_e32 v[50:51], 0
	s_and_saveexec_b64 s[20:21], vcc
	s_cbranch_execz .LBB4_186
; %bb.19:
	v_ashrrev_i32_e32 v3, 31, v2
	v_lshrrev_b32_e32 v3, 29, v3
	v_add_u32_e32 v2, v2, v3
	s_ashr_i32 s17, s16, 31
	v_ashrrev_i32_e32 v62, 7, v2
	v_lshl_add_u64 v[2:3], v[8:9], 0, v[56:57]
	s_lshl_b64 s[2:3], s[16:17], 2
	v_lshl_add_u64 v[40:41], v[2:3], 0, v[24:25]
	v_lshl_add_u64 v[2:3], v[18:19], 0, s[2:3]
	v_lshl_add_u64 v[2:3], v[2:3], 0, -4
	v_accvgpr_write_b32 a19, v3
	v_accvgpr_write_b32 a18, v2
	;; [unrolled: 1-line block ×3, first 2 shown]
	v_cmp_ne_u32_sdwa s[26:27], v17, v16 src0_sel:WORD_0 src1_sel:DWORD
	v_and_b32_e32 v2, 63, v31
	v_ashrrev_i32_e32 v17, 31, v16
	v_cmp_eq_u32_e64 s[8:9], 0, v2
	v_lshrrev_b32_e32 v2, 26, v17
	v_add_u32_e32 v2, v16, v2
	v_ashrrev_i32_e32 v2, 6, v2
	v_ashrrev_i32_e32 v3, 31, v2
	v_accvgpr_write_b32 a21, v3
	v_accvgpr_read_b32 v4, a6
	v_accvgpr_write_b32 a20, v2
	v_lshlrev_b64 v[2:3], 3, v[0:1]
	v_accvgpr_read_b32 v6, a8
	v_accvgpr_read_b32 v7, a9
	v_lshl_add_u64 v[8:9], v[6:7], 0, v[2:3]
	v_accvgpr_write_b32 a23, v9
	v_accvgpr_write_b32 a22, v8
	s_waitcnt vmcnt(0) lgkmcnt(0)
	v_accvgpr_read_b32 v8, a16
	v_accvgpr_read_b32 v5, a7
	;; [unrolled: 1-line block ×3, first 2 shown]
	v_mov_b32_e32 v55, 0
	v_cmp_ne_u64_e64 s[10:11], 0, v[8:9]
	v_lshl_add_u64 v[8:9], v[4:5], 0, v[2:3]
	v_lshl_add_u64 v[2:3], v[60:61], 3, v[2:3]
	;; [unrolled: 1-line block ×3, first 2 shown]
	v_lshlrev_b32_e32 v2, 3, v22
	v_mov_b32_e32 v3, v55
	v_and_b32_e32 v2, 0x1fffff0, v2
	v_accvgpr_write_b32 a29, v3
	v_accvgpr_write_b32 a28, v2
	v_lshlrev_b64 v[2:3], 3, v[40:41]
	v_accvgpr_write_b32 a31, v3
	v_and_b32_e32 v54, 7, v4
	v_accvgpr_write_b32 a30, v2
	v_lshl_add_u64 v[2:3], v[0:1], 4, v[32:33]
	v_accvgpr_write_b32 a12, v26
	v_accvgpr_write_b32 a10, v20
	s_mov_b32 s22, 0
	s_cmp_gt_i32 s16, 2
	v_accvgpr_write_b32 a25, v9
	v_cmp_eq_u64_e32 vcc, 0, v[54:55]
	v_accvgpr_write_b32 a33, v3
	v_mov_b64_e32 v[46:47], 0
	v_accvgpr_write_b32 a13, v27
	v_accvgpr_write_b32 a11, v21
	v_and_b32_e32 v20, 0x3ffffe, v22
	s_mov_b32 s23, 1
	v_mov_b32_e32 v21, v55
	s_mov_b64 s[24:25], 0
	v_cmp_ne_u64_e64 s[2:3], 0, v[38:39]
	v_cmp_ne_u64_e64 s[4:5], 0, v[12:13]
	v_cmp_ne_u32_e64 s[6:7], 64, v16
	s_cselect_b64 s[28:29], -1, 0
	v_accvgpr_write_b32 a24, v8
	v_cndmask_b32_e64 v30, 0, 1, vcc
	v_lshlrev_b64 v[24:25], 3, v[16:17]
	v_accvgpr_write_b32 a32, v2
	v_lshlrev_b64 v[22:23], 4, v[16:17]
	s_movk_i32 s17, 0x2710
	s_mov_b64 s[30:31], 0x7ffffff8
	v_mov_b32_e32 v36, 0
	v_mov_b64_e32 v[50:51], v[46:47]
	s_branch .LBB4_21
.LBB4_20:                               ;   in Loop: Header=BB4_21 Depth=1
	s_or_b64 exec, exec, s[12:13]
	v_lshl_add_u64 v[46:47], v[46:47], 0, v[20:21]
	v_accvgpr_read_b32 v2, a28
	v_cmp_ge_u64_e32 vcc, v[46:47], v[58:59]
	v_accvgpr_read_b32 v3, a29
	v_lshl_add_u64 v[28:29], v[28:29], 0, 1
	s_or_b64 s[24:25], vcc, s[24:25]
	v_lshl_add_u64 v[56:57], v[56:57], 0, v[2:3]
	s_andn2_b64 exec, exec, s[24:25]
	s_cbranch_execz .LBB4_185
.LBB4_21:                               ; =>This Loop Header: Depth=1
                                        ;     Child Loop BB4_28 Depth 2
                                        ;     Child Loop BB4_45 Depth 2
	;; [unrolled: 1-line block ×5, first 2 shown]
                                        ;       Child Loop BB4_81 Depth 3
                                        ;       Child Loop BB4_97 Depth 3
	;; [unrolled: 1-line block ×3, first 2 shown]
                                        ;         Child Loop BB4_116 Depth 4
                                        ;       Child Loop BB4_130 Depth 3
                                        ;       Child Loop BB4_74 Depth 3
                                        ;     Child Loop BB4_147 Depth 2
                                        ;       Child Loop BB4_151 Depth 3
                                        ;     Child Loop BB4_172 Depth 2
	v_accvgpr_read_b32 v2, a18
	v_accvgpr_read_b32 v3, a19
	s_waitcnt vmcnt(0) lgkmcnt(0)
	flat_load_dword v7, v[2:3]
	v_sub_co_u32_e32 v2, vcc, v58, v46
	v_accvgpr_write_b32 a5, v30
	s_nop 0
	v_subb_co_u32_e32 v3, vcc, v59, v47, vcc
	v_cmp_lt_u64_e32 vcc, v[20:21], v[2:3]
	s_nop 1
	v_cndmask_b32_e32 v30, v2, v20, vcc
	s_and_saveexec_b64 s[12:13], s[2:3]
	s_cbranch_execz .LBB4_37
; %bb.22:                               ;   in Loop: Header=BB4_21 Depth=1
	v_lshl_add_u64 v[2:3], v[14:15], 0, 1
	v_lshl_add_u64 v[4:5], v[48:49], 0, 8
	v_cmp_lt_u64_e32 vcc, v[4:5], v[2:3]
	s_and_saveexec_b64 s[14:15], vcc
	s_cbranch_execz .LBB4_34
; %bb.23:                               ;   in Loop: Header=BB4_21 Depth=1
	s_sleep 1
	flat_load_dwordx2 v[48:49], v[38:39] sc1
	v_cmp_eq_u32_e32 vcc, 0, v36
	s_and_saveexec_b64 s[34:35], vcc
	s_cbranch_execz .LBB4_33
; %bb.24:                               ;   in Loop: Header=BB4_21 Depth=1
	v_cndmask_b32_e64 v4, 0, 1, vcc
	s_mov_b64 s[36:37], 0
                                        ; implicit-def: $sgpr38_sgpr39
	s_branch .LBB4_28
.LBB4_25:                               ;   in Loop: Header=BB4_28 Depth=2
	s_or_b64 exec, exec, s[46:47]
	s_orn2_b64 s[44:45], s[44:45], exec
.LBB4_26:                               ;   in Loop: Header=BB4_28 Depth=2
	s_or_b64 exec, exec, s[42:43]
	s_xor_b64 vcc, s[44:45], -1
	s_andn2_b64 s[38:39], s[38:39], exec
	s_and_b64 vcc, vcc, exec
	s_or_b64 s[38:39], s[38:39], vcc
.LBB4_27:                               ;   in Loop: Header=BB4_28 Depth=2
	s_or_b64 exec, exec, s[40:41]
	s_and_b64 vcc, exec, s[38:39]
	s_or_b64 s[36:37], vcc, s[36:37]
	s_andn2_b64 exec, exec, s[36:37]
	s_cbranch_execz .LBB4_32
.LBB4_28:                               ;   Parent Loop BB4_21 Depth=1
                                        ; =>  This Inner Loop Header: Depth=2
	s_waitcnt vmcnt(0) lgkmcnt(0)
	v_lshl_add_u64 v[8:9], v[48:49], 0, 8
	v_cmp_lt_u64_e32 vcc, v[8:9], v[2:3]
	v_mov_b32_e32 v36, 0
	s_or_b64 s[38:39], s[38:39], exec
	s_and_saveexec_b64 s[40:41], vcc
	s_cbranch_execz .LBB4_27
; %bb.29:                               ;   in Loop: Header=BB4_28 Depth=2
	s_sleep 1
	flat_load_dwordx2 v[48:49], v[38:39] sc1
	v_add_u32_e32 v4, 1, v4
	v_cmp_eq_u32_e32 vcc, s17, v4
	s_mov_b64 s[44:45], -1
	v_mov_b32_e32 v36, 0
	s_and_saveexec_b64 s[42:43], vcc
	s_cbranch_execz .LBB4_26
; %bb.30:                               ;   in Loop: Header=BB4_28 Depth=2
	s_trap 2
	ds_read_b64 v[4:5], v0
	v_mov_b32_e32 v36, 0
	s_waitcnt vmcnt(0) lgkmcnt(0)
	flat_load_dword v5, v[4:5] sc0 sc1
	s_waitcnt vmcnt(0) lgkmcnt(0)
	buffer_inv sc0 sc1
	v_mov_b32_e32 v4, 0
	v_cmp_ne_u32_e32 vcc, 0, v5
	s_and_saveexec_b64 s[46:47], vcc
	s_cbranch_execz .LBB4_25
; %bb.31:                               ;   in Loop: Header=BB4_28 Depth=2
	v_mov_b32_e32 v36, 1
	s_xor_b64 s[44:45], exec, -1
	ds_write_b32 v0, v5
	s_trap 2
	s_branch .LBB4_25
.LBB4_32:                               ;   in Loop: Header=BB4_21 Depth=1
	s_or_b64 exec, exec, s[36:37]
.LBB4_33:                               ;   in Loop: Header=BB4_21 Depth=1
	s_or_b64 exec, exec, s[34:35]
.LBB4_34:                               ;   in Loop: Header=BB4_21 Depth=1
	s_or_b64 exec, exec, s[14:15]
	s_and_saveexec_b64 s[14:15], s[4:5]
	s_cbranch_execz .LBB4_36
; %bb.35:                               ;   in Loop: Header=BB4_21 Depth=1
	v_and_b32_e32 v54, 0x7ffffff8, v14
	v_cmp_eq_u64_e32 vcc, s[30:31], v[54:55]
	v_and_b32_e32 v6, 7, v14
	s_nop 0
	v_cndmask_b32_e32 v4, v30, v62, vcc
	v_lshlrev_b32_e32 v4, 4, v4
	v_ashrrev_i32_e32 v5, 31, v4
	v_mad_u64_u32 v[8:9], vcc, v6, 24, v[12:13]
	flat_store_dwordx2 v[8:9], v[4:5] offset:8 sc0 sc1
	s_waitcnt vmcnt(0)
.LBB4_36:                               ;   in Loop: Header=BB4_21 Depth=1
	s_or_b64 exec, exec, s[14:15]
	v_mov_b64_e32 v[14:15], v[2:3]
.LBB4_37:                               ;   in Loop: Header=BB4_21 Depth=1
	s_or_b64 exec, exec, s[12:13]
	s_and_saveexec_b64 s[12:13], s[6:7]
	s_cbranch_execz .LBB4_56
; %bb.38:                               ;   in Loop: Header=BB4_21 Depth=1
	s_and_saveexec_b64 s[14:15], s[26:27]
	s_xor_b64 s[14:15], exec, s[14:15]
	s_cbranch_execz .LBB4_53
; %bb.39:                               ;   in Loop: Header=BB4_21 Depth=1
	s_and_saveexec_b64 s[34:35], s[8:9]
	s_cbranch_execz .LBB4_52
; %bb.40:                               ;   in Loop: Header=BB4_21 Depth=1
	s_mov_b64 s[38:39], exec
	v_mbcnt_lo_u32_b32 v2, s38, 0
	v_mbcnt_hi_u32_b32 v2, s39, v2
	v_cmp_eq_u32_e32 vcc, 0, v2
	s_waitcnt lgkmcnt(0)
	s_and_saveexec_b64 s[36:37], vcc
	s_cbranch_execz .LBB4_42
; %bb.41:                               ;   in Loop: Header=BB4_21 Depth=1
	s_bcnt1_i32_b64 vcc_lo, s[38:39]
	v_mov_b32_e32 v54, vcc_lo
	ds_add_u64 v0, v[54:55]
	s_trap 2
.LBB4_42:                               ;   in Loop: Header=BB4_21 Depth=1
	s_or_b64 exec, exec, s[36:37]
	s_trap 2
	ds_read_b64 v[2:3], v0
	v_accvgpr_read_b32 v4, a20
	v_accvgpr_read_b32 v5, a21
	v_lshl_add_u64 v[50:51], v[50:51], 0, v[4:5]
	s_waitcnt lgkmcnt(0)
	v_cmp_lt_u64_e32 vcc, v[2:3], v[50:51]
	s_and_saveexec_b64 s[36:37], vcc
	s_cbranch_execz .LBB4_51
; %bb.43:                               ;   in Loop: Header=BB4_21 Depth=1
	s_mov_b32 s48, 0
	s_mov_b64 s[38:39], 0
                                        ; implicit-def: $sgpr40_sgpr41
                                        ; implicit-def: $sgpr42_sgpr43
	s_branch .LBB4_45
.LBB4_44:                               ;   in Loop: Header=BB4_45 Depth=2
	s_or_b64 exec, exec, s[46:47]
	s_and_b64 vcc, exec, vcc
	s_or_b64 s[38:39], vcc, s[38:39]
	s_andn2_b64 vcc, s[40:41], exec
	s_and_b64 s[40:41], s[42:43], exec
	s_or_b64 s[40:41], vcc, s[40:41]
	s_andn2_b64 exec, exec, s[38:39]
	s_cbranch_execz .LBB4_49
.LBB4_45:                               ;   Parent Loop BB4_21 Depth=1
                                        ; =>  This Inner Loop Header: Depth=2
	s_add_i32 s48, s48, 1
	s_cmpk_lg_i32 s48, 0x2710
	s_cselect_b64 s[44:45], -1, 0
	s_and_b64 vcc, exec, s[44:45]
                                        ; implicit-def: $sgpr46_sgpr47
	s_cbranch_vccnz .LBB4_47
; %bb.46:                               ;   in Loop: Header=BB4_45 Depth=2
	s_trap 2
	ds_read_b64 v[2:3], v0
	s_andn2_b64 s[44:45], s[44:45], exec
	s_mov_b32 s48, 0
	s_mov_b64 s[46:47], -1
	s_waitcnt vmcnt(0) lgkmcnt(0)
	flat_load_dword v2, v[2:3] sc0 sc1
	s_waitcnt vmcnt(0) lgkmcnt(0)
	buffer_inv sc0 sc1
	v_cmp_eq_u32_e32 vcc, 0, v2
	s_and_b64 vcc, vcc, exec
	s_or_b64 s[44:45], s[44:45], vcc
.LBB4_47:                               ;   in Loop: Header=BB4_45 Depth=2
	s_andn2_b64 s[42:43], s[42:43], exec
	s_and_b64 s[46:47], s[46:47], exec
	s_mov_b64 vcc, -1
	s_or_b64 s[42:43], s[42:43], s[46:47]
	s_and_saveexec_b64 s[46:47], s[44:45]
	s_cbranch_execz .LBB4_44
; %bb.48:                               ;   in Loop: Header=BB4_45 Depth=2
	s_sleep 1
	s_trap 2
	ds_read_b64 v[2:3], v0
	s_andn2_b64 s[42:43], s[42:43], exec
	s_waitcnt lgkmcnt(0)
	v_cmp_ge_u64_e32 vcc, v[2:3], v[50:51]
	s_orn2_b64 vcc, vcc, exec
	s_branch .LBB4_44
.LBB4_49:                               ;   in Loop: Header=BB4_21 Depth=1
	s_or_b64 exec, exec, s[38:39]
	s_and_saveexec_b64 vcc, s[40:41]
	s_xor_b64 vcc, exec, vcc
	s_cbranch_execz .LBB4_51
; %bb.50:                               ;   in Loop: Header=BB4_21 Depth=1
	v_mov_b32_e32 v2, 1
	ds_write_b32 v0, v2
	s_trap 2
.LBB4_51:                               ;   in Loop: Header=BB4_21 Depth=1
	s_or_b64 exec, exec, s[36:37]
	;;#ASMSTART
	s_wakeup
	;;#ASMEND
.LBB4_52:                               ;   in Loop: Header=BB4_21 Depth=1
	s_or_b64 exec, exec, s[34:35]
.LBB4_53:                               ;   in Loop: Header=BB4_21 Depth=1
	s_andn2_saveexec_b64 s[14:15], s[14:15]
	s_cbranch_execz .LBB4_55
; %bb.54:                               ;   in Loop: Header=BB4_21 Depth=1
	s_waitcnt lgkmcnt(0)
	s_barrier
.LBB4_55:                               ;   in Loop: Header=BB4_21 Depth=1
	s_or_b64 exec, exec, s[14:15]
.LBB4_56:                               ;   in Loop: Header=BB4_21 Depth=1
	s_or_b64 exec, exec, s[12:13]
	v_accvgpr_write_b32 a6, v20
	v_sub_u32_e32 v26, v30, v0
	v_accvgpr_write_b32 a7, v21
	v_cmp_lt_i32_e64 s[12:13], 0, v26
	v_and_b32_e32 v9, 7, v10
	v_mov_b32_e32 v6, v0
	s_and_saveexec_b64 s[14:15], s[12:13]
	s_cbranch_execz .LBB4_60
; %bb.57:                               ;   in Loop: Header=BB4_21 Depth=1
	v_accvgpr_read_b32 v53, a31
	s_waitcnt vmcnt(0) lgkmcnt(0)
	v_ashrrev_i32_e32 v6, 31, v7
	v_accvgpr_read_b32 v52, a30
	v_mad_u64_u32 v[4:5], vcc, v52, v7, v[56:57]
	v_mul_lo_u32 v7, v53, v7
	v_mul_lo_u32 v6, v52, v6
	;; [unrolled: 1-line block ×3, first 2 shown]
	v_add3_u32 v5, v7, v5, v6
	v_accvgpr_read_b32 v6, a32
	v_ashrrev_i32_e32 v21, 31, v20
	v_mov_b32_e32 v2, v55
	v_mov_b32_e32 v3, v10
	v_accvgpr_read_b32 v7, a33
	v_lshl_add_u64 v[2:3], v[2:3], 0, s[22:23]
	v_lshl_add_u64 v[20:21], v[20:21], 4, v[6:7]
	s_mov_b64 s[34:35], 0
	v_mov_b32_e32 v7, v26
	v_mov_b32_e32 v6, v0
.LBB4_58:                               ;   Parent Loop BB4_21 Depth=1
                                        ; =>  This Inner Loop Header: Depth=2
	global_load_dwordx2 v[52:53], v[4:5], off nt
	v_sub_u32_e32 v7, v7, v16
	v_mov_b32_e32 v43, v3
	v_mov_b32_e32 v45, v3
	v_cmp_gt_i32_e32 vcc, 1, v7
	v_add_u32_e32 v6, v6, v16
	v_lshl_add_u64 v[4:5], v[4:5], 0, v[24:25]
	s_or_b64 s[34:35], vcc, s[34:35]
	s_waitcnt vmcnt(0)
	v_mov_b32_e32 v8, v53
	v_or_b32_e32 v42, v52, v2
	v_or_b32_e32 v44, v8, v2
	global_store_dwordx4 v[20:21], v[42:45], off
	v_lshl_add_u64 v[20:21], v[20:21], 0, v[22:23]
	s_andn2_b64 exec, exec, s[34:35]
	s_cbranch_execnz .LBB4_58
; %bb.59:                               ;   in Loop: Header=BB4_21 Depth=1
	s_or_b64 exec, exec, s[34:35]
.LBB4_60:                               ;   in Loop: Header=BB4_21 Depth=1
	s_or_b64 exec, exec, s[14:15]
	v_and_b32_e32 v54, 0x7ffffff8, v10
	v_cmp_eq_u64_e32 vcc, s[30:31], v[54:55]
	v_cmp_gt_i32_e64 s[14:15], v62, v6
	s_and_b64 vcc, vcc, s[14:15]
	s_and_saveexec_b64 s[14:15], vcc
	s_cbranch_execz .LBB4_63
; %bb.61:                               ;   in Loop: Header=BB4_21 Depth=1
	v_mul_lo_u32 v4, v9, v62
	v_ashrrev_i32_e32 v5, 31, v4
	s_waitcnt vmcnt(0) lgkmcnt(0)
	v_ashrrev_i32_e32 v7, 31, v6
	v_lshlrev_b64 v[4:5], 4, v[4:5]
	v_mov_b32_e32 v2, v55
	v_mov_b32_e32 v3, v10
	v_lshl_add_u64 v[4:5], v[6:7], 4, v[4:5]
	v_lshl_add_u64 v[2:3], v[2:3], 0, s[22:23]
	;; [unrolled: 1-line block ×3, first 2 shown]
	s_mov_b64 s[34:35], 0
.LBB4_62:                               ;   Parent Loop BB4_21 Depth=1
                                        ; =>  This Inner Loop Header: Depth=2
	v_add_u32_e32 v6, v6, v16
	v_mov_b32_e32 v4, v2
	v_mov_b32_e32 v5, v3
	v_cmp_ge_i32_e32 vcc, v6, v62
	global_store_dwordx4 v[20:21], v[2:5], off
	s_or_b64 s[34:35], vcc, s[34:35]
	v_lshl_add_u64 v[20:21], v[20:21], 0, v[22:23]
	s_andn2_b64 exec, exec, s[34:35]
	s_cbranch_execnz .LBB4_62
.LBB4_63:                               ;   in Loop: Header=BB4_21 Depth=1
	s_or_b64 exec, exec, s[14:15]
	v_accvgpr_write_b32 a26, v56
	v_accvgpr_write_b32 a27, v57
	v_lshl_add_u64 v[4:5], v[46:47], 0, v[60:61]
	s_andn2_b64 vcc, exec, s[28:29]
	v_lshl_add_u64 v[56:57], v[10:11], 0, 1
	s_cbranch_vccnz .LBB4_141
; %bb.64:                               ;   in Loop: Header=BB4_21 Depth=1
	v_accvgpr_read_b32 v2, a22
	v_accvgpr_write_b32 a0, v60
	v_accvgpr_write_b32 a2, v58
	v_accvgpr_read_b32 v3, a23
	v_accvgpr_write_b32 a35, v5
	v_accvgpr_write_b32 a1, v61
	;; [unrolled: 1-line block ×4, first 2 shown]
	v_lshl_add_u64 v[60:61], v[4:5], 3, v[2:3]
	v_add_u16_e32 v27, 1, v10
	s_mov_b32 s50, 2
	s_branch .LBB4_66
.LBB4_65:                               ;   in Loop: Header=BB4_66 Depth=2
	s_or_b64 exec, exec, s[14:15]
	s_add_i32 s50, s50, 1
	v_lshl_add_u64 v[28:29], v[28:29], 0, 1
	v_lshl_add_u64 v[56:57], v[56:57], 0, 1
	s_cmp_eq_u32 s50, s16
	v_add_u16_e32 v27, 1, v27
	s_cbranch_scc1 .LBB4_142
.LBB4_66:                               ;   Parent Loop BB4_21 Depth=1
                                        ; =>  This Loop Header: Depth=2
                                        ;       Child Loop BB4_81 Depth 3
                                        ;       Child Loop BB4_97 Depth 3
	;; [unrolled: 1-line block ×3, first 2 shown]
                                        ;         Child Loop BB4_116 Depth 4
                                        ;       Child Loop BB4_130 Depth 3
                                        ;       Child Loop BB4_74 Depth 3
	s_sub_i32 s14, s16, s50
	s_ashr_i32 s15, s14, 31
	s_lshl_b64 s[14:15], s[14:15], 2
	v_lshl_add_u64 v[2:3], v[18:19], 0, s[14:15]
	s_waitcnt vmcnt(0) lgkmcnt(0)
	flat_load_dword v4, v[2:3]
	s_and_saveexec_b64 s[14:15], s[2:3]
	s_cbranch_execnz .LBB4_75
; %bb.67:                               ;   in Loop: Header=BB4_66 Depth=2
	s_or_b64 exec, exec, s[14:15]
	s_and_saveexec_b64 s[14:15], s[6:7]
	s_cbranch_execnz .LBB4_90
.LBB4_68:                               ;   in Loop: Header=BB4_66 Depth=2
	s_or_b64 exec, exec, s[14:15]
	v_mov_b32_e32 v10, v0
	s_and_saveexec_b64 s[34:35], s[12:13]
	s_cbranch_execnz .LBB4_108
.LBB4_69:                               ;   in Loop: Header=BB4_66 Depth=2
	s_or_b64 exec, exec, s[34:35]
	s_and_saveexec_b64 s[14:15], s[6:7]
	s_cbranch_execnz .LBB4_123
.LBB4_70:                               ;   in Loop: Header=BB4_66 Depth=2
	s_or_b64 exec, exec, s[14:15]
	s_and_saveexec_b64 s[14:15], s[10:11]
	s_cbranch_execz .LBB4_72
.LBB4_71:                               ;   in Loop: Header=BB4_66 Depth=2
	v_accvgpr_read_b32 v2, a16
	v_lshl_add_u64 v[34:35], v[34:35], 0, 1
	v_accvgpr_read_b32 v3, a17
	flat_store_dwordx2 v[2:3], v[34:35] sc0 sc1
.LBB4_72:                               ;   in Loop: Header=BB4_66 Depth=2
	s_or_b64 exec, exec, s[14:15]
	v_and_b32_e32 v54, 0x7ffffff8, v56
	v_cmp_eq_u64_e32 vcc, s[30:31], v[54:55]
	v_cmp_gt_i32_e64 s[14:15], v62, v10
	s_and_b64 vcc, vcc, s[14:15]
	s_and_saveexec_b64 s[14:15], vcc
	s_cbranch_execz .LBB4_65
; %bb.73:                               ;   in Loop: Header=BB4_66 Depth=2
	v_and_b32_e32 v2, 7, v27
	v_mul_lo_u32 v2, v62, v2
	v_ashrrev_i32_e32 v3, 31, v2
	s_waitcnt vmcnt(0) lgkmcnt(0)
	v_lshlrev_b64 v[4:5], 4, v[2:3]
	v_ashrrev_i32_e32 v11, 31, v10
	v_mov_b32_e32 v2, v55
	v_mov_b32_e32 v3, v56
	v_lshl_add_u64 v[4:5], v[10:11], 4, v[4:5]
	v_lshl_add_u64 v[2:3], v[2:3], 0, s[22:23]
	;; [unrolled: 1-line block ×3, first 2 shown]
	s_mov_b64 s[34:35], 0
.LBB4_74:                               ;   Parent Loop BB4_21 Depth=1
                                        ;     Parent Loop BB4_66 Depth=2
                                        ; =>    This Inner Loop Header: Depth=3
	v_add_u32_e32 v10, v10, v16
	v_mov_b32_e32 v4, v2
	v_mov_b32_e32 v5, v3
	v_cmp_ge_i32_e32 vcc, v10, v62
	global_store_dwordx4 v[6:7], v[2:5], off
	s_or_b64 s[34:35], vcc, s[34:35]
	v_lshl_add_u64 v[6:7], v[6:7], 0, v[22:23]
	s_andn2_b64 exec, exec, s[34:35]
	s_cbranch_execnz .LBB4_74
	s_branch .LBB4_65
.LBB4_75:                               ;   in Loop: Header=BB4_66 Depth=2
	v_lshl_add_u64 v[2:3], v[14:15], 0, 1
	s_waitcnt vmcnt(0) lgkmcnt(0)
	v_lshl_add_u64 v[6:7], v[48:49], 0, 8
	v_cmp_lt_u64_e32 vcc, v[6:7], v[2:3]
	s_and_saveexec_b64 s[34:35], vcc
	s_cbranch_execz .LBB4_87
; %bb.76:                               ;   in Loop: Header=BB4_66 Depth=2
	s_sleep 1
	flat_load_dwordx2 v[48:49], v[38:39] sc1
	v_cmp_eq_u32_e32 vcc, 0, v36
	s_and_saveexec_b64 s[36:37], vcc
	s_cbranch_execz .LBB4_86
; %bb.77:                               ;   in Loop: Header=BB4_66 Depth=2
	v_cndmask_b32_e64 v5, 0, 1, vcc
	s_mov_b64 s[38:39], 0
                                        ; implicit-def: $sgpr40_sgpr41
	s_branch .LBB4_81
.LBB4_78:                               ;   in Loop: Header=BB4_81 Depth=3
	s_or_b64 exec, exec, s[48:49]
	s_orn2_b64 s[46:47], s[46:47], exec
.LBB4_79:                               ;   in Loop: Header=BB4_81 Depth=3
	s_or_b64 exec, exec, s[44:45]
	s_xor_b64 vcc, s[46:47], -1
	s_andn2_b64 s[40:41], s[40:41], exec
	s_and_b64 vcc, vcc, exec
	s_or_b64 s[40:41], s[40:41], vcc
.LBB4_80:                               ;   in Loop: Header=BB4_81 Depth=3
	s_or_b64 exec, exec, s[42:43]
	s_and_b64 vcc, exec, s[40:41]
	s_or_b64 s[38:39], vcc, s[38:39]
	s_andn2_b64 exec, exec, s[38:39]
	s_cbranch_execz .LBB4_85
.LBB4_81:                               ;   Parent Loop BB4_21 Depth=1
                                        ;     Parent Loop BB4_66 Depth=2
                                        ; =>    This Inner Loop Header: Depth=3
	s_waitcnt vmcnt(0) lgkmcnt(0)
	v_lshl_add_u64 v[6:7], v[48:49], 0, 8
	v_cmp_lt_u64_e32 vcc, v[6:7], v[2:3]
	v_mov_b32_e32 v36, 0
	s_or_b64 s[40:41], s[40:41], exec
	s_and_saveexec_b64 s[42:43], vcc
	s_cbranch_execz .LBB4_80
; %bb.82:                               ;   in Loop: Header=BB4_81 Depth=3
	s_sleep 1
	flat_load_dwordx2 v[48:49], v[38:39] sc1
	v_add_u32_e32 v5, 1, v5
	v_cmp_eq_u32_e32 vcc, s17, v5
	s_mov_b64 s[46:47], -1
	v_mov_b32_e32 v36, 0
	s_and_saveexec_b64 s[44:45], vcc
	s_cbranch_execz .LBB4_79
; %bb.83:                               ;   in Loop: Header=BB4_81 Depth=3
	s_trap 2
	ds_read_b64 v[6:7], v0
	v_mov_b32_e32 v5, 0
	v_mov_b32_e32 v36, 0
	s_waitcnt vmcnt(0) lgkmcnt(0)
	flat_load_dword v6, v[6:7] sc0 sc1
	s_waitcnt vmcnt(0) lgkmcnt(0)
	buffer_inv sc0 sc1
	v_cmp_ne_u32_e32 vcc, 0, v6
	s_and_saveexec_b64 s[48:49], vcc
	s_cbranch_execz .LBB4_78
; %bb.84:                               ;   in Loop: Header=BB4_81 Depth=3
	v_mov_b32_e32 v36, 1
	s_xor_b64 s[46:47], exec, -1
	ds_write_b32 v0, v6
	s_trap 2
	s_branch .LBB4_78
.LBB4_85:                               ;   in Loop: Header=BB4_66 Depth=2
	s_or_b64 exec, exec, s[38:39]
.LBB4_86:                               ;   in Loop: Header=BB4_66 Depth=2
	s_or_b64 exec, exec, s[36:37]
.LBB4_87:                               ;   in Loop: Header=BB4_66 Depth=2
	s_or_b64 exec, exec, s[34:35]
	s_and_saveexec_b64 s[34:35], s[4:5]
	s_cbranch_execz .LBB4_89
; %bb.88:                               ;   in Loop: Header=BB4_66 Depth=2
	v_and_b32_e32 v54, 0x7ffffff8, v14
	v_cmp_eq_u64_e32 vcc, s[30:31], v[54:55]
	s_nop 1
	v_cndmask_b32_e32 v5, v30, v62, vcc
	v_lshlrev_b32_e32 v6, 4, v5
	v_and_b32_e32 v5, 7, v14
	v_ashrrev_i32_e32 v7, 31, v6
	v_mad_u64_u32 v[8:9], vcc, v5, 24, v[12:13]
	flat_store_dwordx2 v[8:9], v[6:7] offset:8 sc0 sc1
	s_waitcnt vmcnt(0)
.LBB4_89:                               ;   in Loop: Header=BB4_66 Depth=2
	s_or_b64 exec, exec, s[34:35]
	v_mov_b64_e32 v[14:15], v[2:3]
	s_or_b64 exec, exec, s[14:15]
	s_and_saveexec_b64 s[14:15], s[6:7]
	s_cbranch_execz .LBB4_68
.LBB4_90:                               ;   in Loop: Header=BB4_66 Depth=2
	s_and_saveexec_b64 vcc, s[26:27]
	s_xor_b64 s[34:35], exec, vcc
	s_cbranch_execz .LBB4_105
; %bb.91:                               ;   in Loop: Header=BB4_66 Depth=2
	s_and_saveexec_b64 s[36:37], s[8:9]
	s_cbranch_execz .LBB4_104
; %bb.92:                               ;   in Loop: Header=BB4_66 Depth=2
	s_mov_b64 s[40:41], exec
	v_mbcnt_lo_u32_b32 v2, s40, 0
	v_mbcnt_hi_u32_b32 v2, s41, v2
	v_cmp_eq_u32_e32 vcc, 0, v2
	s_waitcnt lgkmcnt(0)
	s_and_saveexec_b64 s[38:39], vcc
	s_cbranch_execz .LBB4_94
; %bb.93:                               ;   in Loop: Header=BB4_66 Depth=2
	s_bcnt1_i32_b64 vcc_lo, s[40:41]
	v_mov_b32_e32 v54, vcc_lo
	ds_add_u64 v0, v[54:55]
	s_trap 2
.LBB4_94:                               ;   in Loop: Header=BB4_66 Depth=2
	s_or_b64 exec, exec, s[38:39]
	s_trap 2
	ds_read_b64 v[2:3], v0
	s_waitcnt vmcnt(0)
	v_accvgpr_read_b32 v6, a20
	v_accvgpr_read_b32 v7, a21
	v_lshl_add_u64 v[50:51], v[50:51], 0, v[6:7]
	s_waitcnt lgkmcnt(0)
	v_cmp_lt_u64_e32 vcc, v[2:3], v[50:51]
	s_and_saveexec_b64 s[38:39], vcc
	s_cbranch_execz .LBB4_103
; %bb.95:                               ;   in Loop: Header=BB4_66 Depth=2
	s_mov_b32 s51, 0
	s_mov_b64 s[40:41], 0
                                        ; implicit-def: $sgpr42_sgpr43
                                        ; implicit-def: $sgpr44_sgpr45
	s_branch .LBB4_97
.LBB4_96:                               ;   in Loop: Header=BB4_97 Depth=3
	s_or_b64 exec, exec, s[48:49]
	s_and_b64 vcc, exec, vcc
	s_or_b64 s[40:41], vcc, s[40:41]
	s_andn2_b64 vcc, s[42:43], exec
	s_and_b64 s[42:43], s[44:45], exec
	s_or_b64 s[42:43], vcc, s[42:43]
	s_andn2_b64 exec, exec, s[40:41]
	s_cbranch_execz .LBB4_101
.LBB4_97:                               ;   Parent Loop BB4_21 Depth=1
                                        ;     Parent Loop BB4_66 Depth=2
                                        ; =>    This Inner Loop Header: Depth=3
	s_add_i32 s51, s51, 1
	s_cmpk_lg_i32 s51, 0x2710
	s_cselect_b64 s[46:47], -1, 0
	s_and_b64 vcc, exec, s[46:47]
                                        ; implicit-def: $sgpr48_sgpr49
	s_cbranch_vccnz .LBB4_99
; %bb.98:                               ;   in Loop: Header=BB4_97 Depth=3
	s_trap 2
	ds_read_b64 v[2:3], v0
	s_andn2_b64 s[46:47], s[46:47], exec
	s_mov_b32 s51, 0
	s_mov_b64 s[48:49], -1
	s_waitcnt lgkmcnt(0)
	flat_load_dword v2, v[2:3] sc0 sc1
	s_waitcnt vmcnt(0) lgkmcnt(0)
	buffer_inv sc0 sc1
	v_cmp_eq_u32_e32 vcc, 0, v2
	s_and_b64 vcc, vcc, exec
	s_or_b64 s[46:47], s[46:47], vcc
.LBB4_99:                               ;   in Loop: Header=BB4_97 Depth=3
	s_andn2_b64 s[44:45], s[44:45], exec
	s_and_b64 s[48:49], s[48:49], exec
	s_mov_b64 vcc, -1
	s_or_b64 s[44:45], s[44:45], s[48:49]
	s_and_saveexec_b64 s[48:49], s[46:47]
	s_cbranch_execz .LBB4_96
; %bb.100:                              ;   in Loop: Header=BB4_97 Depth=3
	s_sleep 1
	s_trap 2
	ds_read_b64 v[2:3], v0
	s_andn2_b64 s[44:45], s[44:45], exec
	s_waitcnt lgkmcnt(0)
	v_cmp_ge_u64_e32 vcc, v[2:3], v[50:51]
	s_orn2_b64 vcc, vcc, exec
	s_branch .LBB4_96
.LBB4_101:                              ;   in Loop: Header=BB4_66 Depth=2
	s_or_b64 exec, exec, s[40:41]
	s_and_saveexec_b64 vcc, s[42:43]
	s_xor_b64 vcc, exec, vcc
	s_cbranch_execz .LBB4_103
; %bb.102:                              ;   in Loop: Header=BB4_66 Depth=2
	v_mov_b32_e32 v2, 1
	ds_write_b32 v0, v2
	s_trap 2
.LBB4_103:                              ;   in Loop: Header=BB4_66 Depth=2
	s_or_b64 exec, exec, s[38:39]
	;;#ASMSTART
	s_wakeup
	;;#ASMEND
.LBB4_104:                              ;   in Loop: Header=BB4_66 Depth=2
	s_or_b64 exec, exec, s[36:37]
.LBB4_105:                              ;   in Loop: Header=BB4_66 Depth=2
	s_andn2_saveexec_b64 vcc, s[34:35]
	s_cbranch_execz .LBB4_107
; %bb.106:                              ;   in Loop: Header=BB4_66 Depth=2
	s_waitcnt lgkmcnt(0)
	s_barrier
.LBB4_107:                              ;   in Loop: Header=BB4_66 Depth=2
	s_or_b64 exec, exec, vcc
	s_or_b64 exec, exec, s[14:15]
	v_mov_b32_e32 v10, v0
	s_and_saveexec_b64 s[34:35], s[12:13]
	s_cbranch_execz .LBB4_69
.LBB4_108:                              ;   in Loop: Header=BB4_66 Depth=2
	s_waitcnt vmcnt(0) lgkmcnt(0)
	v_ashrrev_i32_e32 v2, 31, v4
	v_mul_lo_u32 v5, v41, v4
	v_mul_lo_u32 v6, v40, v2
	v_mad_u64_u32 v[2:3], s[14:15], v40, v4, 0
	v_add3_u32 v3, v3, v6, v5
	v_lshl_add_u64 v[20:21], v[2:3], 3, v[60:61]
	v_and_b32_e32 v2, 7, v28
	v_mul_lo_u32 v2, v2, v62
	v_accvgpr_read_b32 v4, a14
	v_ashrrev_i32_e32 v3, 31, v2
	v_accvgpr_read_b32 v5, a15
	v_lshl_add_u64 v[42:43], v[2:3], 4, v[4:5]
	v_and_b32_e32 v2, 7, v56
	v_mul_lo_u32 v2, v2, v62
	v_ashrrev_i32_e32 v3, 31, v2
	v_lshl_add_u64 v[58:59], v[2:3], 4, v[32:33]
	v_mov_b32_e32 v2, v55
	v_mov_b32_e32 v3, v56
	v_add_u32_e32 v37, 1, v28
	v_lshl_add_u64 v[44:45], v[2:3], 0, s[22:23]
	s_mov_b64 s[36:37], 0
	v_mov_b32_e32 v9, v36
	v_mov_b32_e32 v54, v26
	;; [unrolled: 1-line block ×3, first 2 shown]
	s_branch .LBB4_112
.LBB4_109:                              ;   in Loop: Header=BB4_112 Depth=3
	s_or_b64 exec, exec, s[42:43]
.LBB4_110:                              ;   in Loop: Header=BB4_112 Depth=3
	s_or_b64 exec, exec, s[40:41]
.LBB4_111:                              ;   in Loop: Header=BB4_112 Depth=3
	s_or_b64 exec, exec, s[38:39]
	s_waitcnt vmcnt(0)
	v_mul_lo_u32 v4, v4, v6
	v_mul_lo_u32 v5, v2, v7
	v_mad_u64_u32 v[2:3], s[14:15], v2, v6, 0
	v_sub_u32_e32 v54, v54, v16
	v_add3_u32 v3, v3, v5, v4
	v_cmp_gt_i32_e32 vcc, 1, v54
	v_lshl_add_u64 v[20:21], v[16:17], 3, v[20:21]
	v_lshl_add_u64 v[6:7], v[10:11], 4, v[58:59]
	v_or_b32_e32 v2, v44, v2
	v_or_b32_e32 v4, v44, v3
	v_mov_b32_e32 v3, v45
	v_mov_b32_e32 v5, v45
	s_or_b64 s[36:37], vcc, s[36:37]
	v_add_u32_e32 v10, v10, v16
	global_store_dwordx4 v[6:7], v[2:5], off
	s_andn2_b64 exec, exec, s[36:37]
	s_cbranch_execz .LBB4_122
.LBB4_112:                              ;   Parent Loop BB4_21 Depth=1
                                        ;     Parent Loop BB4_66 Depth=2
                                        ; =>    This Loop Header: Depth=3
                                        ;         Child Loop BB4_116 Depth 4
	v_ashrrev_i32_e32 v11, 31, v10
	v_lshl_add_u64 v[52:53], v[10:11], 4, v[42:43]
	global_load_dwordx2 v[6:7], v[20:21], off nt
	global_load_dwordx4 v[2:5], v[52:53], off nt
	v_cmp_eq_u32_e32 vcc, 0, v9
	s_and_saveexec_b64 s[38:39], vcc
	s_cbranch_execz .LBB4_111
; %bb.113:                              ;   in Loop: Header=BB4_112 Depth=3
	s_waitcnt vmcnt(0)
	v_cmp_ne_u32_e32 vcc, v37, v3
	v_cmp_ne_u32_e64 s[14:15], v37, v5
	s_or_b64 s[14:15], vcc, s[14:15]
	v_mov_b32_e32 v9, 0
	s_and_saveexec_b64 s[40:41], s[14:15]
	s_cbranch_execz .LBB4_110
; %bb.114:                              ;   in Loop: Header=BB4_112 Depth=3
	s_mov_b32 s46, 1
	s_mov_b64 s[42:43], 0
	v_mov_b32_e32 v9, 0
	s_branch .LBB4_116
.LBB4_115:                              ;   in Loop: Header=BB4_116 Depth=4
	s_or_b64 exec, exec, s[44:45]
	s_and_b64 s[14:15], exec, s[14:15]
	s_or_b64 s[42:43], s[14:15], s[42:43]
	s_andn2_b64 exec, exec, s[42:43]
	s_cbranch_execz .LBB4_109
.LBB4_116:                              ;   Parent Loop BB4_21 Depth=1
                                        ;     Parent Loop BB4_66 Depth=2
                                        ;       Parent Loop BB4_112 Depth=3
                                        ; =>      This Inner Loop Header: Depth=4
	global_load_dwordx4 v[2:5], v[52:53], off nt
	s_add_i32 s46, s46, 1
	s_cmpk_lg_i32 s46, 0x2710
	s_cbranch_scc1 .LBB4_120
; %bb.117:                              ;   in Loop: Header=BB4_116 Depth=4
	s_trap 2
	ds_read_b64 v[8:9], v0
	s_waitcnt vmcnt(0) lgkmcnt(0)
	flat_load_dword v8, v[8:9] sc0 sc1
	s_waitcnt vmcnt(0) lgkmcnt(0)
	buffer_inv sc0 sc1
	v_mov_b32_e32 v9, v36
	v_cmp_ne_u32_e32 vcc, 0, v8
	s_and_saveexec_b64 s[14:15], vcc
	s_cbranch_execz .LBB4_119
; %bb.118:                              ;   in Loop: Header=BB4_116 Depth=4
	v_or_b32_e32 v9, 1, v36
	v_mov_b32_e32 v36, 1
	ds_write_b32 v0, v8
	s_trap 2
.LBB4_119:                              ;   in Loop: Header=BB4_116 Depth=4
	s_or_b64 exec, exec, s[14:15]
	v_mov_b32_e32 v8, v36
	s_mov_b32 s46, 0
	v_mov_b32_e32 v36, v9
	v_cmp_eq_u32_e32 vcc, 0, v8
	s_mov_b64 s[14:15], -1
	s_and_saveexec_b64 s[44:45], vcc
	s_cbranch_execz .LBB4_115
	s_branch .LBB4_121
.LBB4_120:                              ;   in Loop: Header=BB4_116 Depth=4
	v_mov_b32_e32 v8, 0
	v_cmp_eq_u32_e32 vcc, 0, v8
	s_mov_b64 s[14:15], -1
	s_and_saveexec_b64 s[44:45], vcc
	s_cbranch_execz .LBB4_115
.LBB4_121:                              ;   in Loop: Header=BB4_116 Depth=4
	s_waitcnt vmcnt(0)
	v_cmp_eq_u32_e32 vcc, v37, v3
	v_cmp_eq_u32_e64 s[14:15], v37, v5
	s_and_b64 s[14:15], vcc, s[14:15]
	s_orn2_b64 s[14:15], s[14:15], exec
	s_branch .LBB4_115
.LBB4_122:                              ;   in Loop: Header=BB4_66 Depth=2
	s_or_b64 exec, exec, s[36:37]
	s_or_b64 exec, exec, s[34:35]
	s_and_saveexec_b64 s[14:15], s[6:7]
	s_cbranch_execz .LBB4_70
.LBB4_123:                              ;   in Loop: Header=BB4_66 Depth=2
	s_and_saveexec_b64 vcc, s[26:27]
	s_xor_b64 s[34:35], exec, vcc
	s_cbranch_execz .LBB4_138
; %bb.124:                              ;   in Loop: Header=BB4_66 Depth=2
	s_and_saveexec_b64 s[36:37], s[8:9]
	s_cbranch_execz .LBB4_137
; %bb.125:                              ;   in Loop: Header=BB4_66 Depth=2
	s_mov_b64 s[40:41], exec
	v_mbcnt_lo_u32_b32 v2, s40, 0
	v_mbcnt_hi_u32_b32 v2, s41, v2
	v_cmp_eq_u32_e32 vcc, 0, v2
	s_waitcnt lgkmcnt(0)
	s_and_saveexec_b64 s[38:39], vcc
	s_cbranch_execz .LBB4_127
; %bb.126:                              ;   in Loop: Header=BB4_66 Depth=2
	s_bcnt1_i32_b64 vcc_lo, s[40:41]
	v_mov_b32_e32 v54, vcc_lo
	ds_add_u64 v0, v[54:55]
	s_trap 2
.LBB4_127:                              ;   in Loop: Header=BB4_66 Depth=2
	s_or_b64 exec, exec, s[38:39]
	s_trap 2
	ds_read_b64 v[2:3], v0
	s_waitcnt vmcnt(0)
	v_accvgpr_read_b32 v4, a20
	v_accvgpr_read_b32 v5, a21
	v_lshl_add_u64 v[50:51], v[50:51], 0, v[4:5]
	s_waitcnt lgkmcnt(0)
	v_cmp_lt_u64_e32 vcc, v[2:3], v[50:51]
	s_and_saveexec_b64 s[38:39], vcc
	s_cbranch_execz .LBB4_136
; %bb.128:                              ;   in Loop: Header=BB4_66 Depth=2
	s_mov_b32 s51, 0
	s_mov_b64 s[40:41], 0
                                        ; implicit-def: $sgpr42_sgpr43
                                        ; implicit-def: $sgpr44_sgpr45
	s_branch .LBB4_130
.LBB4_129:                              ;   in Loop: Header=BB4_130 Depth=3
	s_or_b64 exec, exec, s[48:49]
	s_and_b64 vcc, exec, vcc
	s_or_b64 s[40:41], vcc, s[40:41]
	s_andn2_b64 vcc, s[42:43], exec
	s_and_b64 s[42:43], s[44:45], exec
	s_or_b64 s[42:43], vcc, s[42:43]
	s_andn2_b64 exec, exec, s[40:41]
	s_cbranch_execz .LBB4_134
.LBB4_130:                              ;   Parent Loop BB4_21 Depth=1
                                        ;     Parent Loop BB4_66 Depth=2
                                        ; =>    This Inner Loop Header: Depth=3
	s_add_i32 s51, s51, 1
	s_cmpk_lg_i32 s51, 0x2710
	s_cselect_b64 s[46:47], -1, 0
	s_and_b64 vcc, exec, s[46:47]
                                        ; implicit-def: $sgpr48_sgpr49
	s_cbranch_vccnz .LBB4_132
; %bb.131:                              ;   in Loop: Header=BB4_130 Depth=3
	s_trap 2
	ds_read_b64 v[2:3], v0
	s_andn2_b64 s[46:47], s[46:47], exec
	s_mov_b32 s51, 0
	s_mov_b64 s[48:49], -1
	s_waitcnt lgkmcnt(0)
	flat_load_dword v2, v[2:3] sc0 sc1
	s_waitcnt vmcnt(0) lgkmcnt(0)
	buffer_inv sc0 sc1
	v_cmp_eq_u32_e32 vcc, 0, v2
	s_and_b64 vcc, vcc, exec
	s_or_b64 s[46:47], s[46:47], vcc
.LBB4_132:                              ;   in Loop: Header=BB4_130 Depth=3
	s_andn2_b64 s[44:45], s[44:45], exec
	s_and_b64 s[48:49], s[48:49], exec
	s_mov_b64 vcc, -1
	s_or_b64 s[44:45], s[44:45], s[48:49]
	s_and_saveexec_b64 s[48:49], s[46:47]
	s_cbranch_execz .LBB4_129
; %bb.133:                              ;   in Loop: Header=BB4_130 Depth=3
	s_sleep 1
	s_trap 2
	ds_read_b64 v[2:3], v0
	s_andn2_b64 s[44:45], s[44:45], exec
	s_waitcnt lgkmcnt(0)
	v_cmp_ge_u64_e32 vcc, v[2:3], v[50:51]
	s_orn2_b64 vcc, vcc, exec
	s_branch .LBB4_129
.LBB4_134:                              ;   in Loop: Header=BB4_66 Depth=2
	s_or_b64 exec, exec, s[40:41]
	s_and_saveexec_b64 vcc, s[42:43]
	s_xor_b64 vcc, exec, vcc
	s_cbranch_execz .LBB4_136
; %bb.135:                              ;   in Loop: Header=BB4_66 Depth=2
	v_mov_b32_e32 v2, 1
	ds_write_b32 v0, v2
	s_trap 2
.LBB4_136:                              ;   in Loop: Header=BB4_66 Depth=2
	s_or_b64 exec, exec, s[38:39]
	;;#ASMSTART
	s_wakeup
	;;#ASMEND
.LBB4_137:                              ;   in Loop: Header=BB4_66 Depth=2
	s_or_b64 exec, exec, s[36:37]
.LBB4_138:                              ;   in Loop: Header=BB4_66 Depth=2
	s_andn2_saveexec_b64 vcc, s[34:35]
	s_cbranch_execz .LBB4_140
; %bb.139:                              ;   in Loop: Header=BB4_66 Depth=2
	s_waitcnt lgkmcnt(0)
	s_barrier
.LBB4_140:                              ;   in Loop: Header=BB4_66 Depth=2
	s_or_b64 exec, exec, vcc
	s_or_b64 exec, exec, s[14:15]
	s_and_saveexec_b64 s[14:15], s[10:11]
	s_cbranch_execnz .LBB4_71
	s_branch .LBB4_72
.LBB4_141:                              ;   in Loop: Header=BB4_21 Depth=1
	v_accvgpr_write_b32 a35, v5
	v_accvgpr_write_b32 a34, v4
	v_mov_b64_e32 v[10:11], v[56:57]
	s_branch .LBB4_143
.LBB4_142:                              ;   in Loop: Header=BB4_21 Depth=1
	v_accvgpr_read_b32 v59, a3
	v_accvgpr_read_b32 v61, a1
	v_mov_b64_e32 v[10:11], v[56:57]
	v_accvgpr_read_b32 v58, a2
	v_accvgpr_read_b32 v60, a0
.LBB4_143:                              ;   in Loop: Header=BB4_21 Depth=1
	v_accvgpr_read_b32 v2, a34
	v_accvgpr_read_b32 v30, a5
	;; [unrolled: 1-line block ×3, first 2 shown]
; %bb.144:                              ;   in Loop: Header=BB4_21 Depth=1
	s_and_saveexec_b64 s[14:15], s[12:13]
	s_cbranch_execz .LBB4_164
; %bb.145:                              ;   in Loop: Header=BB4_21 Depth=1
	flat_load_dword v6, v[18:19]
	s_waitcnt vmcnt(0) lgkmcnt(0)
	v_accvgpr_read_b32 v4, a8
	v_accvgpr_read_b32 v8, a24
	v_lshlrev_b64 v[2:3], 3, v[2:3]
	v_and_b32_e32 v7, 7, v28
	v_accvgpr_read_b32 v5, a9
	v_accvgpr_read_b32 v9, a25
	v_lshl_add_u64 v[4:5], v[4:5], 0, v[2:3]
	v_lshl_add_u64 v[20:21], v[8:9], 0, v[2:3]
	v_mul_lo_u32 v2, v7, v62
	v_accvgpr_read_b32 v8, a14
	v_ashrrev_i32_e32 v3, 31, v2
	v_accvgpr_read_b32 v9, a15
	v_lshl_add_u64 v[56:57], v[2:3], 4, v[8:9]
	v_add_u32_e32 v27, 1, v28
	s_mov_b64 s[34:35], 0
	v_mov_b32_e32 v44, v0
	v_ashrrev_i32_e32 v7, 31, v6
	v_mul_lo_u32 v8, v41, v6
	v_mad_u64_u32 v[2:3], s[12:13], v40, v6, 0
	v_mul_lo_u32 v6, v40, v7
	v_add3_u32 v3, v3, v6, v8
	v_lshl_add_u64 v[2:3], v[2:3], 3, v[4:5]
	v_lshl_add_u64 v[42:43], v[0:1], 3, v[2:3]
	s_branch .LBB4_147
.LBB4_146:                              ;   in Loop: Header=BB4_147 Depth=2
	v_sub_u32_e32 v26, v26, v16
	v_cmp_gt_i32_e32 vcc, 1, v26
	v_lshl_add_u64 v[42:43], v[42:43], 0, v[24:25]
	v_lshl_add_u64 v[20:21], v[20:21], 0, v[24:25]
	s_or_b64 s[34:35], vcc, s[34:35]
	v_add_u32_e32 v44, v44, v16
	s_andn2_b64 exec, exec, s[34:35]
	s_cbranch_execz .LBB4_163
.LBB4_147:                              ;   Parent Loop BB4_21 Depth=1
                                        ; =>  This Loop Header: Depth=2
                                        ;       Child Loop BB4_151 Depth 3
	v_ashrrev_i32_e32 v45, 31, v44
	v_lshl_add_u64 v[52:53], v[44:45], 4, v[56:57]
	global_load_dwordx2 v[6:7], v[42:43], off nt
	global_load_dwordx4 v[2:5], v[52:53], off nt
	v_cmp_eq_u32_e32 vcc, 0, v36
	s_and_saveexec_b64 s[36:37], vcc
	s_cbranch_execz .LBB4_159
; %bb.148:                              ;   in Loop: Header=BB4_147 Depth=2
	s_waitcnt vmcnt(0)
	v_cmp_ne_u32_e32 vcc, v27, v3
	v_cmp_ne_u32_e64 s[12:13], v27, v5
	s_or_b64 s[12:13], vcc, s[12:13]
	v_mov_b32_e32 v36, 0
	s_and_saveexec_b64 s[38:39], s[12:13]
	s_cbranch_execz .LBB4_158
; %bb.149:                              ;   in Loop: Header=BB4_147 Depth=2
	s_mov_b32 s44, 1
	s_mov_b64 s[40:41], 0
	v_mov_b32_e32 v36, 0
	s_branch .LBB4_151
.LBB4_150:                              ;   in Loop: Header=BB4_151 Depth=3
	s_or_b64 exec, exec, s[42:43]
	s_and_b64 s[12:13], exec, s[12:13]
	s_or_b64 s[40:41], s[12:13], s[40:41]
	s_andn2_b64 exec, exec, s[40:41]
	s_cbranch_execz .LBB4_157
.LBB4_151:                              ;   Parent Loop BB4_21 Depth=1
                                        ;     Parent Loop BB4_147 Depth=2
                                        ; =>    This Inner Loop Header: Depth=3
	global_load_dwordx4 v[2:5], v[52:53], off nt
	s_add_i32 s44, s44, 1
	s_cmpk_lg_i32 s44, 0x2710
	s_cbranch_scc1 .LBB4_155
; %bb.152:                              ;   in Loop: Header=BB4_151 Depth=3
	s_trap 2
	ds_read_b64 v[8:9], v0
	s_waitcnt vmcnt(0) lgkmcnt(0)
	flat_load_dword v8, v[8:9] sc0 sc1
	s_waitcnt vmcnt(0) lgkmcnt(0)
	buffer_inv sc0 sc1
	v_cmp_ne_u32_e32 vcc, 0, v8
	s_and_saveexec_b64 s[12:13], vcc
	s_cbranch_execz .LBB4_154
; %bb.153:                              ;   in Loop: Header=BB4_151 Depth=3
	v_mov_b32_e32 v36, 1
	ds_write_b32 v0, v8
	s_trap 2
.LBB4_154:                              ;   in Loop: Header=BB4_151 Depth=3
	s_or_b64 exec, exec, s[12:13]
	s_mov_b32 s44, 0
	v_mov_b32_e32 v8, v36
	v_cmp_eq_u32_e32 vcc, 0, v8
	s_mov_b64 s[12:13], -1
	s_and_saveexec_b64 s[42:43], vcc
	s_cbranch_execz .LBB4_150
	s_branch .LBB4_156
.LBB4_155:                              ;   in Loop: Header=BB4_151 Depth=3
	v_mov_b32_e32 v8, 0
	v_cmp_eq_u32_e32 vcc, 0, v8
	s_mov_b64 s[12:13], -1
	s_and_saveexec_b64 s[42:43], vcc
	s_cbranch_execz .LBB4_150
.LBB4_156:                              ;   in Loop: Header=BB4_151 Depth=3
	s_waitcnt vmcnt(0)
	v_cmp_eq_u32_e32 vcc, v27, v3
	v_cmp_eq_u32_e64 s[12:13], v27, v5
	s_and_b64 s[12:13], vcc, s[12:13]
	s_orn2_b64 s[12:13], s[12:13], exec
	s_branch .LBB4_150
.LBB4_157:                              ;   in Loop: Header=BB4_147 Depth=2
	s_or_b64 exec, exec, s[40:41]
.LBB4_158:                              ;   in Loop: Header=BB4_147 Depth=2
	s_or_b64 exec, exec, s[38:39]
.LBB4_159:                              ;   in Loop: Header=BB4_147 Depth=2
	s_or_b64 exec, exec, s[36:37]
	s_waitcnt vmcnt(0)
	v_mul_lo_u32 v4, v4, v6
	v_mul_lo_u32 v5, v2, v7
	v_mad_u64_u32 v[2:3], s[12:13], v2, v6, 0
	v_add3_u32 v3, v3, v5, v4
	v_mov_b32_e32 v4, v30
	;;#ASMSTART
	;;#ASMEND
	s_mov_b64 s[12:13], -1
	v_cmp_ne_u32_e32 vcc, 0, v4
	s_cmp_lg_u64 vcc, exec
	s_cbranch_scc0 .LBB4_161
; %bb.160:                              ;   in Loop: Header=BB4_147 Depth=2
	flat_store_dwordx2 v[20:21], v[2:3]
	s_mov_b64 s[12:13], 0
.LBB4_161:                              ;   in Loop: Header=BB4_147 Depth=2
	s_andn2_b64 vcc, exec, s[12:13]
	s_cbranch_vccnz .LBB4_146
; %bb.162:                              ;   in Loop: Header=BB4_147 Depth=2
	global_store_dwordx2 v[20:21], v[2:3], off
	s_branch .LBB4_146
.LBB4_163:                              ;   in Loop: Header=BB4_21 Depth=1
	s_or_b64 exec, exec, s[34:35]
.LBB4_164:                              ;   in Loop: Header=BB4_21 Depth=1
	s_or_b64 exec, exec, s[14:15]
	v_accvgpr_read_b32 v21, a7
	v_accvgpr_read_b32 v57, a27
	;; [unrolled: 1-line block ×4, first 2 shown]
	s_and_saveexec_b64 s[12:13], s[6:7]
	s_cbranch_execz .LBB4_183
; %bb.165:                              ;   in Loop: Header=BB4_21 Depth=1
	s_and_saveexec_b64 s[14:15], s[26:27]
	s_xor_b64 s[14:15], exec, s[14:15]
	s_cbranch_execz .LBB4_180
; %bb.166:                              ;   in Loop: Header=BB4_21 Depth=1
	s_and_saveexec_b64 s[34:35], s[8:9]
	s_cbranch_execz .LBB4_179
; %bb.167:                              ;   in Loop: Header=BB4_21 Depth=1
	s_mov_b64 s[38:39], exec
	v_mbcnt_lo_u32_b32 v2, s38, 0
	v_mbcnt_hi_u32_b32 v2, s39, v2
	v_cmp_eq_u32_e32 vcc, 0, v2
	s_waitcnt lgkmcnt(0)
	s_and_saveexec_b64 s[36:37], vcc
	s_cbranch_execz .LBB4_169
; %bb.168:                              ;   in Loop: Header=BB4_21 Depth=1
	s_bcnt1_i32_b64 vcc_lo, s[38:39]
	v_mov_b32_e32 v54, vcc_lo
	ds_add_u64 v0, v[54:55]
	s_trap 2
.LBB4_169:                              ;   in Loop: Header=BB4_21 Depth=1
	s_or_b64 exec, exec, s[36:37]
	s_trap 2
	ds_read_b64 v[2:3], v0
	s_waitcnt vmcnt(0)
	v_accvgpr_read_b32 v4, a20
	v_accvgpr_read_b32 v5, a21
	v_lshl_add_u64 v[50:51], v[50:51], 0, v[4:5]
	s_waitcnt lgkmcnt(0)
	v_cmp_lt_u64_e32 vcc, v[2:3], v[50:51]
	s_and_saveexec_b64 s[36:37], vcc
	s_cbranch_execz .LBB4_178
; %bb.170:                              ;   in Loop: Header=BB4_21 Depth=1
	s_mov_b32 s48, 0
	s_mov_b64 s[38:39], 0
                                        ; implicit-def: $sgpr40_sgpr41
                                        ; implicit-def: $sgpr42_sgpr43
	s_branch .LBB4_172
.LBB4_171:                              ;   in Loop: Header=BB4_172 Depth=2
	s_or_b64 exec, exec, s[46:47]
	s_and_b64 vcc, exec, vcc
	s_or_b64 s[38:39], vcc, s[38:39]
	s_andn2_b64 vcc, s[40:41], exec
	s_and_b64 s[40:41], s[42:43], exec
	s_or_b64 s[40:41], vcc, s[40:41]
	s_andn2_b64 exec, exec, s[38:39]
	s_cbranch_execz .LBB4_176
.LBB4_172:                              ;   Parent Loop BB4_21 Depth=1
                                        ; =>  This Inner Loop Header: Depth=2
	s_add_i32 s48, s48, 1
	s_cmpk_lg_i32 s48, 0x2710
	s_cselect_b64 s[44:45], -1, 0
	s_and_b64 vcc, exec, s[44:45]
                                        ; implicit-def: $sgpr46_sgpr47
	s_cbranch_vccnz .LBB4_174
; %bb.173:                              ;   in Loop: Header=BB4_172 Depth=2
	s_trap 2
	ds_read_b64 v[2:3], v0
	s_andn2_b64 s[44:45], s[44:45], exec
	s_mov_b32 s48, 0
	s_mov_b64 s[46:47], -1
	s_waitcnt lgkmcnt(0)
	flat_load_dword v2, v[2:3] sc0 sc1
	s_waitcnt vmcnt(0) lgkmcnt(0)
	buffer_inv sc0 sc1
	v_cmp_eq_u32_e32 vcc, 0, v2
	s_and_b64 vcc, vcc, exec
	s_or_b64 s[44:45], s[44:45], vcc
.LBB4_174:                              ;   in Loop: Header=BB4_172 Depth=2
	s_andn2_b64 s[42:43], s[42:43], exec
	s_and_b64 s[46:47], s[46:47], exec
	s_mov_b64 vcc, -1
	s_or_b64 s[42:43], s[42:43], s[46:47]
	s_and_saveexec_b64 s[46:47], s[44:45]
	s_cbranch_execz .LBB4_171
; %bb.175:                              ;   in Loop: Header=BB4_172 Depth=2
	s_sleep 1
	s_trap 2
	ds_read_b64 v[2:3], v0
	s_andn2_b64 s[42:43], s[42:43], exec
	s_waitcnt lgkmcnt(0)
	v_cmp_ge_u64_e32 vcc, v[2:3], v[50:51]
	s_orn2_b64 vcc, vcc, exec
	s_branch .LBB4_171
.LBB4_176:                              ;   in Loop: Header=BB4_21 Depth=1
	s_or_b64 exec, exec, s[38:39]
	s_and_saveexec_b64 vcc, s[40:41]
	s_xor_b64 vcc, exec, vcc
	s_cbranch_execz .LBB4_178
; %bb.177:                              ;   in Loop: Header=BB4_21 Depth=1
	v_mov_b32_e32 v2, 1
	ds_write_b32 v0, v2
	s_trap 2
.LBB4_178:                              ;   in Loop: Header=BB4_21 Depth=1
	s_or_b64 exec, exec, s[36:37]
	;;#ASMSTART
	s_wakeup
	;;#ASMEND
.LBB4_179:                              ;   in Loop: Header=BB4_21 Depth=1
	s_or_b64 exec, exec, s[34:35]
.LBB4_180:                              ;   in Loop: Header=BB4_21 Depth=1
	s_andn2_saveexec_b64 s[14:15], s[14:15]
	s_cbranch_execz .LBB4_182
; %bb.181:                              ;   in Loop: Header=BB4_21 Depth=1
	s_waitcnt lgkmcnt(0)
	s_barrier
.LBB4_182:                              ;   in Loop: Header=BB4_21 Depth=1
	s_or_b64 exec, exec, s[14:15]
.LBB4_183:                              ;   in Loop: Header=BB4_21 Depth=1
	s_or_b64 exec, exec, s[12:13]
	s_and_saveexec_b64 s[12:13], s[10:11]
	s_cbranch_execz .LBB4_20
; %bb.184:                              ;   in Loop: Header=BB4_21 Depth=1
	v_accvgpr_read_b32 v2, a16
	v_lshl_add_u64 v[34:35], v[34:35], 0, 1
	v_accvgpr_read_b32 v3, a17
	flat_store_dwordx2 v[2:3], v[34:35] sc0 sc1
	s_branch .LBB4_20
.LBB4_185:
	s_or_b64 exec, exec, s[24:25]
	v_accvgpr_read_b32 v21, a11
	v_accvgpr_read_b32 v27, a13
	;; [unrolled: 1-line block ×5, first 2 shown]
.LBB4_186:
	s_or_b64 exec, exec, s[20:21]
; %bb.187:
	s_and_saveexec_b64 s[2:3], s[18:19]
	s_cbranch_execnz .LBB4_190
; %bb.188:
	s_or_b64 exec, exec, s[2:3]
	s_and_saveexec_b64 s[2:3], s[0:1]
	s_cbranch_execnz .LBB4_191
.LBB4_189:
	s_or_b64 exec, exec, s[2:3]
	v_cmp_ne_u32_e32 vcc, 64, v16
	s_and_saveexec_b64 s[0:1], vcc
	s_cbranch_execnz .LBB4_192
	s_branch .LBB4_209
.LBB4_190:
	s_waitcnt vmcnt(0) lgkmcnt(0)
	flat_store_dwordx2 v[26:27], v[34:35] offset:104
	s_or_b64 exec, exec, s[2:3]
	s_and_saveexec_b64 s[2:3], s[0:1]
	s_cbranch_execz .LBB4_189
.LBB4_191:
	s_waitcnt vmcnt(0) lgkmcnt(0)
	flat_store_dwordx2 v[20:21], v[14:15] offset:104
	s_or_b64 exec, exec, s[2:3]
	v_cmp_ne_u32_e32 vcc, 64, v16
	s_and_saveexec_b64 s[0:1], vcc
	s_cbranch_execz .LBB4_209
.LBB4_192:
	v_cmp_ne_u32_sdwa s[2:3], v17, v16 src0_sel:WORD_0 src1_sel:DWORD
	s_and_saveexec_b64 s[4:5], s[2:3]
	s_xor_b64 s[2:3], exec, s[4:5]
	s_cbranch_execz .LBB4_207
; %bb.193:
	v_and_b32_e32 v0, 63, v31
	v_cmp_eq_u32_e32 vcc, 0, v0
	s_and_saveexec_b64 s[4:5], vcc
	s_cbranch_execz .LBB4_206
; %bb.194:
	s_mov_b64 s[8:9], exec
	v_mbcnt_lo_u32_b32 v0, s8, 0
	v_mbcnt_hi_u32_b32 v0, s9, v0
	v_cmp_eq_u32_e32 vcc, 0, v0
	s_waitcnt lgkmcnt(0)
	s_and_saveexec_b64 s[6:7], vcc
	s_cbranch_execz .LBB4_196
; %bb.195:
	s_bcnt1_i32_b64 s8, s[8:9]
	v_mov_b32_e32 v0, s8
	v_mov_b32_e32 v1, 0
	ds_add_u64 v0, v[0:1]
	s_trap 2
.LBB4_196:
	s_or_b64 exec, exec, s[6:7]
	v_ashrrev_i32_e32 v0, 31, v16
	v_lshrrev_b32_e32 v0, 26, v0
	s_trap 2
	ds_read_b64 v[2:3], v0
	v_add_u32_e32 v0, v16, v0
	v_ashrrev_i32_e32 v0, 6, v0
	v_ashrrev_i32_e32 v1, 31, v0
	v_lshl_add_u64 v[0:1], v[50:51], 0, v[0:1]
	s_waitcnt lgkmcnt(0)
	v_cmp_lt_u64_e32 vcc, v[2:3], v[0:1]
	s_and_saveexec_b64 s[6:7], vcc
	s_cbranch_execz .LBB4_205
; %bb.197:
	s_mov_b32 s20, 0
	s_mov_b64 s[8:9], 0
                                        ; implicit-def: $sgpr10_sgpr11
                                        ; implicit-def: $sgpr12_sgpr13
	s_branch .LBB4_199
.LBB4_198:                              ;   in Loop: Header=BB4_199 Depth=1
	s_or_b64 exec, exec, s[18:19]
	s_and_b64 s[14:15], exec, s[16:17]
	s_or_b64 s[8:9], s[14:15], s[8:9]
	s_andn2_b64 s[10:11], s[10:11], exec
	s_and_b64 s[14:15], s[12:13], exec
	s_or_b64 s[10:11], s[10:11], s[14:15]
	s_andn2_b64 exec, exec, s[8:9]
	s_cbranch_execz .LBB4_203
.LBB4_199:                              ; =>This Inner Loop Header: Depth=1
	s_add_i32 s20, s20, 1
	s_cmpk_lg_i32 s20, 0x2710
	s_cselect_b64 s[14:15], -1, 0
	s_and_b64 vcc, exec, s[14:15]
                                        ; implicit-def: $sgpr18_sgpr19
	s_cbranch_vccnz .LBB4_201
; %bb.200:                              ;   in Loop: Header=BB4_199 Depth=1
	s_trap 2
	ds_read_b64 v[2:3], v0
	s_andn2_b64 s[14:15], s[14:15], exec
	s_mov_b32 s20, 0
	s_mov_b64 s[18:19], -1
	s_waitcnt vmcnt(0) lgkmcnt(0)
	flat_load_dword v2, v[2:3] sc0 sc1
	s_waitcnt vmcnt(0) lgkmcnt(0)
	buffer_inv sc0 sc1
	v_cmp_eq_u32_e32 vcc, 0, v2
	s_and_b64 s[16:17], vcc, exec
	s_or_b64 s[14:15], s[14:15], s[16:17]
.LBB4_201:                              ;   in Loop: Header=BB4_199 Depth=1
	s_andn2_b64 s[12:13], s[12:13], exec
	s_and_b64 s[18:19], s[18:19], exec
	s_mov_b64 s[16:17], -1
	s_or_b64 s[12:13], s[12:13], s[18:19]
	s_and_saveexec_b64 s[18:19], s[14:15]
	s_cbranch_execz .LBB4_198
; %bb.202:                              ;   in Loop: Header=BB4_199 Depth=1
	s_sleep 1
	s_trap 2
	ds_read_b64 v[2:3], v0
	s_andn2_b64 s[12:13], s[12:13], exec
	s_waitcnt lgkmcnt(0)
	v_cmp_ge_u64_e32 vcc, v[2:3], v[0:1]
	s_orn2_b64 s[16:17], vcc, exec
	s_branch .LBB4_198
.LBB4_203:
	s_or_b64 exec, exec, s[8:9]
	s_and_saveexec_b64 s[8:9], s[10:11]
	s_xor_b64 s[8:9], exec, s[8:9]
	s_cbranch_execz .LBB4_205
; %bb.204:
	v_mov_b32_e32 v0, 1
	ds_write_b32 v0, v0
	s_trap 2
.LBB4_205:
	s_or_b64 exec, exec, s[6:7]
	;;#ASMSTART
	s_wakeup
	;;#ASMEND
.LBB4_206:
	s_or_b64 exec, exec, s[4:5]
.LBB4_207:
	s_andn2_saveexec_b64 s[2:3], s[2:3]
	s_cbranch_execz .LBB4_209
; %bb.208:
	s_waitcnt lgkmcnt(0)
	s_barrier
.LBB4_209:
	s_or_b64 exec, exec, s[0:1]
	scratch_load_dword a35, off, s32        ; 4-byte Folded Reload
	scratch_load_dword a34, off, s32 offset:4 ; 4-byte Folded Reload
	scratch_load_dword a33, off, s32 offset:8 ; 4-byte Folded Reload
	;; [unrolled: 1-line block ×18, first 2 shown]
	v_readlane_b32 s30, v63, 18
	v_readlane_b32 s31, v63, 19
	;; [unrolled: 1-line block ×20, first 2 shown]
	s_or_saveexec_b64 s[0:1], -1
	scratch_load_dword v63, off, s32 offset:76 ; 4-byte Folded Reload
	s_mov_b64 exec, s[0:1]
	s_waitcnt vmcnt(0) lgkmcnt(0)
	s_setpc_b64 s[30:31]
.Lfunc_end4:
	.size	_ZN12_GLOBAL__N_17runRingIm8FuncProdImE7ProtoLLLi0ELi4ELi0EEEviiP15ncclDevWorkColl, .Lfunc_end4-_ZN12_GLOBAL__N_17runRingIm8FuncProdImE7ProtoLLLi0ELi4ELi0EEEviiP15ncclDevWorkColl
                                        ; -- End function
	.section	.AMDGPU.csdata,"",@progbits
; Function info:
; codeLenInByte = 7148
; NumSgprs: 58
; NumVgprs: 64
; NumAgprs: 36
; TotalNumVgprs: 100
; ScratchSize: 84
; MemoryBound: 0
	.text
	.p2align	2                               ; -- Begin function _Z48ncclDevFunc_ReduceScatter_RING_LL_Prod_u64_0_0_4v
	.type	_Z48ncclDevFunc_ReduceScatter_RING_LL_Prod_u64_0_0_4v,@function
_Z48ncclDevFunc_ReduceScatter_RING_LL_Prod_u64_0_0_4v: ; @_Z48ncclDevFunc_ReduceScatter_RING_LL_Prod_u64_0_0_4v
; %bb.0:
	s_waitcnt vmcnt(0) expcnt(0) lgkmcnt(0)
	s_mov_b32 s0, s33
	s_mov_b32 s33, s32
	s_or_saveexec_b64 s[2:3], -1
	scratch_store_dword off, v42, s33 offset:12 ; 4-byte Folded Spill
	s_mov_b64 exec, s[2:3]
	v_writelane_b32 v42, s0, 28
	s_add_i32 s32, s32, 32
	scratch_store_dword off, v40, s33 offset:8 ; 4-byte Folded Spill
	scratch_store_dword off, v41, s33 offset:4 ; 4-byte Folded Spill
	scratch_store_dword off, v63, s33       ; 4-byte Folded Spill
	v_writelane_b32 v42, s34, 0
	v_writelane_b32 v42, s35, 1
	;; [unrolled: 1-line block ×27, first 2 shown]
	s_nop 1
	v_writelane_b32 v42, s31, 27
	s_trap 2
	ds_read_b32 v0, v0
	s_mov_b32 s54, s12
	s_mov_b64 s[52:53], s[8:9]
	s_waitcnt lgkmcnt(0)
	v_cmp_gt_i32_e32 vcc, 1, v0
	s_cbranch_vccnz .LBB5_8
; %bb.1:
	s_mov_b32 s55, 0
	v_and_b32_e32 v40, 0x3ff, v31
	s_mov_b64 s[56:57], src_shared_base
	v_mov_b32_e32 v41, 6
	s_branch .LBB5_3
.LBB5_2:                                ;   in Loop: Header=BB5_3 Depth=1
	s_or_b64 exec, exec, s[58:59]
	s_trap 2
	ds_read_b32 v0, v0
	s_add_i32 s55, s55, 1
	s_waitcnt lgkmcnt(0)
	v_cmp_lt_i32_e32 vcc, s55, v0
	s_cbranch_vccz .LBB5_8
.LBB5_3:                                ; =>This Inner Loop Header: Depth=1
	s_trap 2
	ds_read_b32 v0, v0
	s_cmp_eq_u32 s55, 0
	s_cbranch_scc1 .LBB5_6
; %bb.4:                                ;   in Loop: Header=BB5_3 Depth=1
	s_trap 2
	s_waitcnt lgkmcnt(0)
	ds_read_b32 v1, v0
	s_waitcnt lgkmcnt(0)
	v_xor_b32_e32 v1, v1, v0
	v_and_b32_e32 v1, 0xff0000, v1
	v_cmp_eq_u32_e32 vcc, 0, v1
	s_cbranch_vccnz .LBB5_6
; %bb.5:                                ;   in Loop: Header=BB5_3 Depth=1
	s_barrier
	ds_read_b32 v0, v0
.LBB5_6:                                ;   in Loop: Header=BB5_3 Depth=1
	s_waitcnt lgkmcnt(0)
	v_lshlrev_b32_sdwa v1, v41, v0 dst_sel:DWORD dst_unused:UNUSED_PAD src0_sel:DWORD src1_sel:BYTE_2
	v_cmp_lt_u32_e32 vcc, v40, v1
	s_and_saveexec_b64 s[58:59], vcc
	s_cbranch_execz .LBB5_2
; %bb.7:                                ;   in Loop: Header=BB5_3 Depth=1
	s_mov_b64 s[8:9], s[52:53]
	s_mov_b32 s12, s54
	v_mov_b32_e32 v0, v40
	v_mov_b32_e32 v3, s57
	s_getpc_b64 s[0:1]
	s_add_u32 s0, s0, _ZN12_GLOBAL__N_17runRingIm8FuncProdImE7ProtoLLLi0ELi4ELi0EEEviiP15ncclDevWorkColl@rel32@lo+4
	s_addc_u32 s1, s1, _ZN12_GLOBAL__N_17runRingIm8FuncProdImE7ProtoLLLi0ELi4ELi0EEEviiP15ncclDevWorkColl@rel32@hi+12
	s_swappc_b64 s[30:31], s[0:1]
	s_branch .LBB5_2
.LBB5_8:
	scratch_load_dword v63, off, s33        ; 4-byte Folded Reload
	scratch_load_dword v41, off, s33 offset:4 ; 4-byte Folded Reload
	scratch_load_dword v40, off, s33 offset:8 ; 4-byte Folded Reload
	v_readlane_b32 s30, v42, 26
	v_readlane_b32 s31, v42, 27
	;; [unrolled: 1-line block ×29, first 2 shown]
	s_or_saveexec_b64 s[2:3], -1
	scratch_load_dword v42, off, s33 offset:12 ; 4-byte Folded Reload
	s_mov_b64 exec, s[2:3]
	s_addk_i32 s32, 0xffe0
	s_mov_b32 s33, s0
	s_waitcnt vmcnt(0)
	s_setpc_b64 s[30:31]
.Lfunc_end5:
	.size	_Z48ncclDevFunc_ReduceScatter_RING_LL_Prod_u64_0_0_4v, .Lfunc_end5-_Z48ncclDevFunc_ReduceScatter_RING_LL_Prod_u64_0_0_4v
                                        ; -- End function
	.section	.AMDGPU.csdata,"",@progbits
; Function info:
; codeLenInByte = 808
; NumSgprs: 66
; NumVgprs: 64
; NumAgprs: 36
; TotalNumVgprs: 100
; ScratchSize: 116
; MemoryBound: 0
	.text
	.p2alignl 6, 3212836864
	.fill 256, 4, 3212836864
	.type	__hip_cuid_f04c5f3b725f8503,@object ; @__hip_cuid_f04c5f3b725f8503
	.section	.bss,"aw",@nobits
	.globl	__hip_cuid_f04c5f3b725f8503
__hip_cuid_f04c5f3b725f8503:
	.byte	0                               ; 0x0
	.size	__hip_cuid_f04c5f3b725f8503, 1

	.ident	"AMD clang version 19.0.0git (https://github.com/RadeonOpenCompute/llvm-project roc-6.4.0 25133 c7fe45cf4b819c5991fe208aaa96edf142730f1d)"
	.section	".note.GNU-stack","",@progbits
	.addrsig
	.addrsig_sym _Z48ncclDevFunc_ReduceScatter_RING_LL_Prod_u64_0_0_1v
	.addrsig_sym _Z48ncclDevFunc_ReduceScatter_RING_LL_Prod_u64_0_0_2v
	.addrsig_sym _Z48ncclDevFunc_ReduceScatter_RING_LL_Prod_u64_0_0_4v
	.addrsig_sym ncclShmem
	.addrsig_sym __hip_cuid_f04c5f3b725f8503
	.amdgpu_metadata
---
amdhsa.kernels:  []
amdhsa.target:   amdgcn-amd-amdhsa--gfx942
amdhsa.version:
  - 1
  - 2
...

	.end_amdgpu_metadata
